;; amdgpu-corpus repo=pytorch/pytorch kind=compiled arch=gfx950 opt=O3
	.amdgcn_target "amdgcn-amd-amdhsa--gfx950"
	.amdhsa_code_object_version 6
	.section	.text._ZN2at6native12_GLOBAL__N_128conv_depthwise3d_cuda_kernelIddLi3ELi3ELi3ELi1ELi1ELi1EEEvN5torch10headeronly6detail27GenericPackedTensorAccessorINS5_14TensorAccessorIN3c108ArrayRefIlEEKT_Lm4ENS4_16DefaultPtrTraitsEiEENS_6detail16IndexBoundsCheckILm5EiEESC_Lm5ESD_iEENS6_INS7_ISA_SB_Lm4ESD_iEESH_SB_Lm5ESD_iEESI_PSC_iiiiiiiii,"axG",@progbits,_ZN2at6native12_GLOBAL__N_128conv_depthwise3d_cuda_kernelIddLi3ELi3ELi3ELi1ELi1ELi1EEEvN5torch10headeronly6detail27GenericPackedTensorAccessorINS5_14TensorAccessorIN3c108ArrayRefIlEEKT_Lm4ENS4_16DefaultPtrTraitsEiEENS_6detail16IndexBoundsCheckILm5EiEESC_Lm5ESD_iEENS6_INS7_ISA_SB_Lm4ESD_iEESH_SB_Lm5ESD_iEESI_PSC_iiiiiiiii,comdat
	.globl	_ZN2at6native12_GLOBAL__N_128conv_depthwise3d_cuda_kernelIddLi3ELi3ELi3ELi1ELi1ELi1EEEvN5torch10headeronly6detail27GenericPackedTensorAccessorINS5_14TensorAccessorIN3c108ArrayRefIlEEKT_Lm4ENS4_16DefaultPtrTraitsEiEENS_6detail16IndexBoundsCheckILm5EiEESC_Lm5ESD_iEENS6_INS7_ISA_SB_Lm4ESD_iEESH_SB_Lm5ESD_iEESI_PSC_iiiiiiiii ; -- Begin function _ZN2at6native12_GLOBAL__N_128conv_depthwise3d_cuda_kernelIddLi3ELi3ELi3ELi1ELi1ELi1EEEvN5torch10headeronly6detail27GenericPackedTensorAccessorINS5_14TensorAccessorIN3c108ArrayRefIlEEKT_Lm4ENS4_16DefaultPtrTraitsEiEENS_6detail16IndexBoundsCheckILm5EiEESC_Lm5ESD_iEENS6_INS7_ISA_SB_Lm4ESD_iEESH_SB_Lm5ESD_iEESI_PSC_iiiiiiiii
	.p2align	8
	.type	_ZN2at6native12_GLOBAL__N_128conv_depthwise3d_cuda_kernelIddLi3ELi3ELi3ELi1ELi1ELi1EEEvN5torch10headeronly6detail27GenericPackedTensorAccessorINS5_14TensorAccessorIN3c108ArrayRefIlEEKT_Lm4ENS4_16DefaultPtrTraitsEiEENS_6detail16IndexBoundsCheckILm5EiEESC_Lm5ESD_iEENS6_INS7_ISA_SB_Lm4ESD_iEESH_SB_Lm5ESD_iEESI_PSC_iiiiiiiii,@function
_ZN2at6native12_GLOBAL__N_128conv_depthwise3d_cuda_kernelIddLi3ELi3ELi3ELi1ELi1ELi1EEEvN5torch10headeronly6detail27GenericPackedTensorAccessorINS5_14TensorAccessorIN3c108ArrayRefIlEEKT_Lm4ENS4_16DefaultPtrTraitsEiEENS_6detail16IndexBoundsCheckILm5EiEESC_Lm5ESD_iEENS6_INS7_ISA_SB_Lm4ESD_iEESH_SB_Lm5ESD_iEESI_PSC_iiiiiiiii: ; @_ZN2at6native12_GLOBAL__N_128conv_depthwise3d_cuda_kernelIddLi3ELi3ELi3ELi1ELi1ELi1EEEvN5torch10headeronly6detail27GenericPackedTensorAccessorINS5_14TensorAccessorIN3c108ArrayRefIlEEKT_Lm4ENS4_16DefaultPtrTraitsEiEENS_6detail16IndexBoundsCheckILm5EiEESC_Lm5ESD_iEENS6_INS7_ISA_SB_Lm4ESD_iEESH_SB_Lm5ESD_iEESI_PSC_iiiiiiiii
; %bb.0:
	s_load_dwordx4 s[28:31], s[0:1], 0xc
	s_load_dwordx4 s[36:39], s[0:1], 0x38
	s_load_dwordx2 s[26:27], s[0:1], 0x48
	s_load_dword s3, s[0:1], 0xcc
	v_mov_b32_e32 v1, 0
	s_waitcnt lgkmcnt(0)
	s_abs_i32 s6, s28
	v_cvt_f32_u32_e32 v2, s6
	s_add_u32 s4, s0, 0xc0
	v_mov_b32_e32 v3, s2
	s_mul_i32 s34, s27, s36
	v_rcp_iflag_f32_e32 v2, v2
	s_addc_u32 s5, s1, 0
	s_and_b32 s3, s3, 0xffff
	s_ashr_i32 s35, s34, 31
	v_mul_f32_e32 v2, 0x4f7ffffe, v2
	v_cvt_u32_f32_e32 v4, v2
	v_mad_u64_u32 v[2:3], s[8:9], s3, v3, v[0:1]
	v_cmp_gt_i64_e32 vcc, s[34:35], v[2:3]
	v_readfirstlane_b32 s7, v4
	s_and_saveexec_b64 s[8:9], vcc
	s_cbranch_execz .LBB0_59
; %bb.1:
	s_sub_i32 s9, 0, s6
	s_mul_i32 s9, s9, s7
	s_mul_hi_u32 s9, s7, s9
	s_ashr_i32 s8, s28, 31
	s_abs_i32 s28, s37
	s_add_i32 s7, s7, s9
	s_ashr_i32 s33, s37, 31
	s_mul_hi_u32 s7, s28, s7
	s_mul_hi_u32 s55, s3, s2
	s_mul_i32 s54, s3, s2
	s_xor_b32 s2, s33, s8
	s_mul_i32 s8, s7, s6
	s_sub_i32 s8, s28, s8
	s_add_i32 s9, s7, 1
	s_sub_i32 s10, s8, s6
	s_cmp_ge_u32 s8, s6
	s_cselect_b32 s7, s9, s7
	s_cselect_b32 s8, s10, s8
	s_add_i32 s9, s7, 1
	s_cmp_ge_u32 s8, s6
	s_cselect_b32 s6, s9, s7
	s_xor_b32 s6, s6, s2
	s_load_dwordx4 s[40:43], s[0:1], 0x98
	s_load_dwordx2 s[56:57], s[0:1], 0xa8
	s_sub_i32 s2, s6, s2
	s_load_dword s6, s[4:5], 0x0
	s_load_dwordx2 s[58:59], s[0:1], 0x90
	s_load_dword s36, s[0:1], 0x7c
	s_load_dwordx2 s[60:61], s[0:1], 0x0
	s_load_dwordx4 s[44:47], s[0:1], 0x1c
	s_add_i32 s4, s30, -3
	s_mul_i32 s64, s31, s4
	s_ashr_i32 s63, s31, 31
	s_ashr_i32 s65, s64, 31
	s_waitcnt lgkmcnt(0)
	s_cmp_lg_u64 s[58:59], 0
	s_cselect_b64 s[66:67], -1, 0
	s_abs_i32 s78, s26
	v_cvt_f32_u32_e32 v2, s78
	s_abs_i32 s80, s39
	v_cvt_f32_u32_e32 v3, s80
	s_load_dword s79, s[0:1], 0x2c
	s_load_dwordx2 s[68:69], s[0:1], 0x30
	v_rcp_iflag_f32_e32 v2, v2
	s_load_dwordx2 s[72:73], s[0:1], 0x60
	s_load_dwordx4 s[48:51], s[0:1], 0x50
	v_rcp_iflag_f32_e32 v3, v3
	s_sub_i32 s0, 0, s78
	v_mul_f32_e32 v2, 0x4f7ffffe, v2
	v_cvt_u32_f32_e32 v2, v2
	s_abs_i32 s82, s38
	s_abs_i32 s85, s2
	v_cvt_f32_u32_e32 v5, s85
	v_mul_lo_u32 v4, s0, v2
	v_mul_hi_u32 v4, v2, v4
	v_add_u32_e32 v10, v2, v4
	v_mul_f32_e32 v2, 0x4f7ffffe, v3
	v_cvt_f32_u32_e32 v3, s82
	v_cvt_u32_f32_e32 v2, v2
	s_sub_i32 s0, 0, s80
	s_mov_b32 s53, 0
	v_rcp_iflag_f32_e32 v3, v3
	v_mul_lo_u32 v4, s0, v2
	v_mul_hi_u32 v4, v2, v4
	v_add_u32_e32 v11, v2, v4
	v_mul_f32_e32 v2, 0x4f7ffffe, v3
	v_cvt_u32_f32_e32 v2, v2
	v_cvt_f32_u32_e32 v3, s28
	s_sub_i32 s0, 0, s82
	s_mov_b32 s62, s31
	v_mul_lo_u32 v4, s0, v2
	v_rcp_iflag_f32_e32 v3, v3
	v_mul_hi_u32 v4, v2, v4
	v_add_u32_e32 v12, v2, v4
	v_rcp_iflag_f32_e32 v2, v5
	v_mul_f32_e32 v3, 0x4f7ffffe, v3
	v_cvt_u32_f32_e32 v3, v3
	s_sub_i32 s0, 0, s28
	v_mul_f32_e32 v2, 0x4f7ffffe, v2
	v_cvt_u32_f32_e32 v2, v2
	v_mul_lo_u32 v4, s0, v3
	v_mul_hi_u32 v4, v3, v4
	s_sub_i32 s0, 0, s85
	v_add_u32_e32 v13, v3, v4
	v_mul_lo_u32 v3, s0, v2
	v_mul_hi_u32 v3, v2, v3
	s_mov_b64 s[70:71], 0
	s_mul_i32 s52, s6, s3
	s_ashr_i32 s81, s26, 31
	s_ashr_i32 s83, s39, 31
	;; [unrolled: 1-line block ×4, first 2 shown]
	v_add_u32_e32 v14, v2, v3
	s_branch .LBB0_3
.LBB0_2:                                ;   in Loop: Header=BB0_3 Depth=1
	v_mul_lo_u32 v6, v18, s27
	v_ashrrev_i32_e32 v7, 31, v6
	v_mul_lo_u32 v2, s48, v2
	v_lshl_add_u64 v[6:7], v[6:7], 3, s[68:69]
	v_ashrrev_i32_e32 v3, 31, v2
	v_lshl_add_u64 v[2:3], v[2:3], 3, v[6:7]
	v_mul_lo_u32 v6, s49, v17
	v_ashrrev_i32_e32 v7, 31, v6
	v_lshl_add_u64 v[2:3], v[6:7], 3, v[2:3]
	v_mul_lo_u32 v6, s50, v16
	;; [unrolled: 3-line block ×3, first 2 shown]
	v_ashrrev_i32_e32 v7, 31, v6
	v_lshl_add_u64 v[0:1], v[0:1], 0, s[52:53]
	v_lshl_add_u64 v[2:3], v[6:7], 3, v[2:3]
	;; [unrolled: 1-line block ×3, first 2 shown]
	v_cmp_le_i64_e32 vcc, s[34:35], v[6:7]
	s_or_b64 s[70:71], vcc, s[70:71]
	global_store_dwordx2 v[2:3], v[4:5], off
	s_andn2_b64 exec, exec, s[70:71]
	s_cbranch_execz .LBB0_59
.LBB0_3:                                ; =>This Inner Loop Header: Depth=1
	v_add_u32_e32 v2, s54, v0
	v_sub_u32_e32 v4, 0, v2
	v_max_i32_e32 v4, v2, v4
	v_mul_hi_u32 v5, v4, v10
	v_mul_lo_u32 v6, v5, s78
	v_sub_u32_e32 v4, v4, v6
	v_add_u32_e32 v6, 1, v5
	v_cmp_le_u32_e32 vcc, s78, v4
	v_ashrrev_i32_e32 v3, 31, v2
	v_xor_b32_e32 v3, s81, v3
	v_cndmask_b32_e32 v5, v5, v6, vcc
	v_subrev_u32_e32 v6, s78, v4
	v_cndmask_b32_e32 v4, v4, v6, vcc
	v_add_u32_e32 v6, 1, v5
	v_cmp_le_u32_e32 vcc, s78, v4
	s_nop 1
	v_cndmask_b32_e32 v4, v5, v6, vcc
	v_xor_b32_e32 v4, v4, v3
	v_sub_u32_e32 v3, v4, v3
	v_mul_lo_u32 v4, v3, s26
	v_sub_u32_e32 v15, v2, v4
	v_sub_u32_e32 v4, 0, v3
	v_max_i32_e32 v4, v3, v4
	v_mul_hi_u32 v5, v4, v11
	v_mul_lo_u32 v6, v5, s80
	v_sub_u32_e32 v4, v4, v6
	v_add_u32_e32 v6, 1, v5
	v_cmp_le_u32_e32 vcc, s80, v4
	v_ashrrev_i32_e32 v2, 31, v3
	v_xor_b32_e32 v2, s83, v2
	v_cndmask_b32_e32 v5, v5, v6, vcc
	v_subrev_u32_e32 v6, s80, v4
	v_cndmask_b32_e32 v4, v4, v6, vcc
	v_add_u32_e32 v6, 1, v5
	v_cmp_le_u32_e32 vcc, s80, v4
	s_nop 1
	v_cndmask_b32_e32 v4, v5, v6, vcc
	v_xor_b32_e32 v4, v4, v2
	v_sub_u32_e32 v2, v4, v2
	v_mul_lo_u32 v4, v2, s39
	v_sub_u32_e32 v16, v3, v4
	;; [unrolled: 20-line block ×4, first 2 shown]
	v_sub_u32_e32 v5, 0, v2
	v_max_i32_e32 v5, v2, v5
	v_mul_hi_u32 v6, v5, v14
	v_mul_lo_u32 v7, v6, s85
	v_sub_u32_e32 v5, v5, v7
	v_add_u32_e32 v7, 1, v6
	v_cmp_le_u32_e32 vcc, s85, v5
	v_ashrrev_i32_e32 v3, 31, v2
	v_xor_b32_e32 v4, s86, v3
	v_cndmask_b32_e32 v6, v6, v7, vcc
	v_subrev_u32_e32 v7, s85, v5
	v_cndmask_b32_e32 v5, v5, v7, vcc
	v_add_u32_e32 v7, 1, v6
	v_cmp_le_u32_e32 vcc, s85, v5
	s_nop 1
	v_cndmask_b32_e32 v5, v6, v7, vcc
	v_xor_b32_e32 v5, v5, v4
	v_sub_u32_e32 v8, v5, v4
	v_mul_lo_u32 v4, v15, s42
	v_subrev_u32_e32 v21, s57, v4
	v_mul_lo_u32 v4, v16, s41
	v_subrev_u32_e32 v20, s56, v4
	;; [unrolled: 2-line block ×3, first 2 shown]
	v_mul_lo_u32 v4, s36, v2
	v_ashrrev_i32_e32 v5, 31, v4
	s_waitcnt lgkmcnt(0)
	v_lshl_add_u64 v[6:7], v[4:5], 3, s[72:73]
	v_mul_lo_u32 v4, s44, v18
	v_ashrrev_i32_e32 v5, 31, v4
	v_mul_lo_u32 v8, s45, v8
	v_lshl_add_u64 v[4:5], v[4:5], 3, s[60:61]
	v_ashrrev_i32_e32 v9, 31, v8
	v_lshl_add_u64 v[4:5], v[8:9], 3, v[4:5]
	v_mul_lo_u32 v8, s46, v19
	v_ashrrev_i32_e32 v9, 31, v8
	v_lshl_add_u64 v[4:5], v[8:9], 3, v[4:5]
	v_mul_lo_u32 v8, s47, v20
	;; [unrolled: 3-line block ×3, first 2 shown]
	v_ashrrev_i32_e32 v9, 31, v8
	v_lshl_add_u64 v[8:9], v[8:9], 3, v[4:5]
	v_or_b32_e32 v4, v19, v20
	v_cmp_lt_i32_e64 s[8:9], -1, v4
	v_or_b32_e32 v4, v4, v21
	v_cmp_gt_i32_e64 s[22:23], s29, v19
	v_cmp_lt_i32_e64 s[0:1], -1, v4
	v_cmp_gt_i32_e64 s[10:11], s30, v20
	s_and_b64 s[0:1], s[0:1], s[22:23]
	s_and_b64 s[2:3], s[0:1], s[10:11]
	v_cmp_gt_i32_e64 s[0:1], s31, v21
	v_cmp_lt_i32_e64 s[14:15], -1, v19
	v_cmp_lt_i32_e64 s[16:17], -1, v20
	v_cmp_lt_i32_e32 vcc, -1, v21
	s_and_b64 s[4:5], s[2:3], s[0:1]
	v_mov_b64_e32 v[4:5], 0
	s_and_saveexec_b64 s[2:3], s[4:5]
	s_cbranch_execz .LBB0_5
; %bb.4:                                ;   in Loop: Header=BB0_3 Depth=1
	global_load_dwordx2 v[4:5], v[6:7], off
	global_load_dwordx2 v[22:23], v[8:9], off
	s_waitcnt vmcnt(0)
	v_fma_f64 v[4:5], v[4:5], v[22:23], 0
.LBB0_5:                                ;   in Loop: Header=BB0_3 Depth=1
	s_or_b64 exec, exec, s[2:3]
	v_cmp_lt_i32_e64 s[2:3], -2, v21
	s_and_b64 s[4:5], s[8:9], s[2:3]
	v_add_u32_e32 v22, 1, v21
	s_and_b64 s[4:5], s[4:5], s[22:23]
	s_and_b64 s[6:7], s[4:5], s[10:11]
	v_cmp_gt_i32_e64 s[4:5], s31, v22
	s_and_b64 s[12:13], s[6:7], s[4:5]
	s_and_saveexec_b64 s[6:7], s[12:13]
	s_cbranch_execz .LBB0_7
; %bb.6:                                ;   in Loop: Header=BB0_3 Depth=1
	global_load_dwordx2 v[22:23], v[6:7], off offset:8
	global_load_dwordx2 v[24:25], v[8:9], off offset:8
	s_waitcnt vmcnt(0)
	v_fmac_f64_e32 v[4:5], v[22:23], v[24:25]
.LBB0_7:                                ;   in Loop: Header=BB0_3 Depth=1
	s_or_b64 exec, exec, s[6:7]
	v_cmp_lt_i32_e64 s[6:7], -3, v21
	s_and_b64 s[8:9], s[8:9], s[6:7]
	v_add_u32_e32 v22, 2, v21
	s_and_b64 s[8:9], s[8:9], s[22:23]
	s_and_b64 s[12:13], s[8:9], s[10:11]
	v_cmp_gt_i32_e64 s[8:9], s31, v22
	s_and_b64 s[18:19], s[12:13], s[8:9]
	s_and_saveexec_b64 s[12:13], s[18:19]
	s_cbranch_execz .LBB0_9
; %bb.8:                                ;   in Loop: Header=BB0_3 Depth=1
	global_load_dwordx2 v[22:23], v[6:7], off offset:16
	global_load_dwordx2 v[24:25], v[8:9], off offset:16
	s_waitcnt vmcnt(0)
	v_fmac_f64_e32 v[4:5], v[22:23], v[24:25]
.LBB0_9:                                ;   in Loop: Header=BB0_3 Depth=1
	s_or_b64 exec, exec, s[12:13]
	v_cmp_lt_i32_e64 s[18:19], -2, v20
	s_and_b64 s[20:21], s[14:15], s[18:19]
	v_add_u32_e32 v21, 1, v20
	s_and_b64 s[24:25], s[20:21], vcc
	v_cmp_gt_i32_e64 s[12:13], s30, v21
	s_and_b64 s[24:25], s[24:25], s[22:23]
	s_and_b64 s[24:25], s[24:25], s[12:13]
	v_lshl_add_u64 v[8:9], s[62:63], 3, v[8:9]
	s_and_b64 s[74:75], s[24:25], s[0:1]
	s_and_saveexec_b64 s[24:25], s[74:75]
	s_cbranch_execz .LBB0_11
; %bb.10:                               ;   in Loop: Header=BB0_3 Depth=1
	global_load_dwordx2 v[22:23], v[6:7], off offset:24
	global_load_dwordx2 v[24:25], v[8:9], off
	s_waitcnt vmcnt(0)
	v_fmac_f64_e32 v[4:5], v[22:23], v[24:25]
.LBB0_11:                               ;   in Loop: Header=BB0_3 Depth=1
	s_or_b64 exec, exec, s[24:25]
	s_and_b64 s[24:25], s[20:21], s[2:3]
	s_and_b64 s[24:25], s[24:25], s[22:23]
	;; [unrolled: 1-line block ×4, first 2 shown]
	s_and_saveexec_b64 s[24:25], s[74:75]
	s_cbranch_execz .LBB0_13
; %bb.12:                               ;   in Loop: Header=BB0_3 Depth=1
	global_load_dwordx2 v[22:23], v[6:7], off offset:32
	global_load_dwordx2 v[24:25], v[8:9], off offset:8
	s_waitcnt vmcnt(0)
	v_fmac_f64_e32 v[4:5], v[22:23], v[24:25]
.LBB0_13:                               ;   in Loop: Header=BB0_3 Depth=1
	s_or_b64 exec, exec, s[24:25]
	s_and_b64 s[20:21], s[20:21], s[6:7]
	s_and_b64 s[20:21], s[20:21], s[22:23]
	;; [unrolled: 1-line block ×4, first 2 shown]
	s_and_saveexec_b64 s[20:21], s[24:25]
	s_cbranch_execz .LBB0_15
; %bb.14:                               ;   in Loop: Header=BB0_3 Depth=1
	global_load_dwordx2 v[22:23], v[6:7], off offset:40
	global_load_dwordx2 v[24:25], v[8:9], off offset:16
	s_waitcnt vmcnt(0)
	v_fmac_f64_e32 v[4:5], v[22:23], v[24:25]
.LBB0_15:                               ;   in Loop: Header=BB0_3 Depth=1
	s_or_b64 exec, exec, s[20:21]
	v_cmp_lt_i32_e64 s[20:21], -3, v20
	s_and_b64 s[24:25], s[14:15], s[20:21]
	v_add_u32_e32 v21, 2, v20
	s_and_b64 s[74:75], s[24:25], vcc
	v_cmp_gt_i32_e64 s[14:15], s30, v21
	s_and_b64 s[74:75], s[74:75], s[22:23]
	s_and_b64 s[74:75], s[74:75], s[14:15]
	v_lshl_add_u64 v[8:9], s[62:63], 3, v[8:9]
	s_and_b64 s[76:77], s[74:75], s[0:1]
	s_and_saveexec_b64 s[74:75], s[76:77]
	s_cbranch_execz .LBB0_17
; %bb.16:                               ;   in Loop: Header=BB0_3 Depth=1
	global_load_dwordx2 v[20:21], v[6:7], off offset:48
	global_load_dwordx2 v[22:23], v[8:9], off
	s_waitcnt vmcnt(0)
	v_fmac_f64_e32 v[4:5], v[20:21], v[22:23]
.LBB0_17:                               ;   in Loop: Header=BB0_3 Depth=1
	s_or_b64 exec, exec, s[74:75]
	s_and_b64 s[74:75], s[24:25], s[2:3]
	s_and_b64 s[74:75], s[74:75], s[22:23]
	;; [unrolled: 1-line block ×4, first 2 shown]
	s_and_saveexec_b64 s[74:75], s[76:77]
	s_cbranch_execz .LBB0_19
; %bb.18:                               ;   in Loop: Header=BB0_3 Depth=1
	global_load_dwordx2 v[20:21], v[6:7], off offset:56
	global_load_dwordx2 v[22:23], v[8:9], off offset:8
	s_waitcnt vmcnt(0)
	v_fmac_f64_e32 v[4:5], v[20:21], v[22:23]
.LBB0_19:                               ;   in Loop: Header=BB0_3 Depth=1
	s_or_b64 exec, exec, s[74:75]
	s_and_b64 s[24:25], s[24:25], s[6:7]
	s_and_b64 s[22:23], s[24:25], s[22:23]
	;; [unrolled: 1-line block ×4, first 2 shown]
	s_and_saveexec_b64 s[22:23], s[24:25]
	s_cbranch_execz .LBB0_21
; %bb.20:                               ;   in Loop: Header=BB0_3 Depth=1
	global_load_dwordx2 v[20:21], v[6:7], off offset:64
	global_load_dwordx2 v[22:23], v[8:9], off offset:16
	s_waitcnt vmcnt(0)
	v_fmac_f64_e32 v[4:5], v[20:21], v[22:23]
.LBB0_21:                               ;   in Loop: Header=BB0_3 Depth=1
	s_or_b64 exec, exec, s[22:23]
	v_cmp_lt_i32_e64 s[24:25], -2, v19
	v_add_u32_e32 v20, 1, v19
	s_and_b64 s[74:75], s[24:25], s[16:17]
	v_cmp_gt_i32_e64 s[22:23], s29, v20
	s_and_b64 s[76:77], s[74:75], vcc
	s_and_b64 s[76:77], s[76:77], s[22:23]
	v_lshl_add_u64 v[8:9], s[62:63], 3, v[8:9]
	s_and_b64 s[76:77], s[76:77], s[10:11]
	v_lshl_add_u64 v[8:9], s[64:65], 3, v[8:9]
	s_and_b64 s[88:89], s[76:77], s[0:1]
	s_and_saveexec_b64 s[76:77], s[88:89]
	s_cbranch_execz .LBB0_23
; %bb.22:                               ;   in Loop: Header=BB0_3 Depth=1
	global_load_dwordx2 v[20:21], v[6:7], off offset:72
	global_load_dwordx2 v[22:23], v[8:9], off
	s_waitcnt vmcnt(0)
	v_fmac_f64_e32 v[4:5], v[20:21], v[22:23]
.LBB0_23:                               ;   in Loop: Header=BB0_3 Depth=1
	s_or_b64 exec, exec, s[76:77]
	s_and_b64 s[76:77], s[74:75], s[2:3]
	s_and_b64 s[76:77], s[76:77], s[22:23]
	;; [unrolled: 1-line block ×4, first 2 shown]
	s_and_saveexec_b64 s[76:77], s[88:89]
	s_cbranch_execz .LBB0_25
; %bb.24:                               ;   in Loop: Header=BB0_3 Depth=1
	global_load_dwordx2 v[20:21], v[6:7], off offset:80
	global_load_dwordx2 v[22:23], v[8:9], off offset:8
	s_waitcnt vmcnt(0)
	v_fmac_f64_e32 v[4:5], v[20:21], v[22:23]
.LBB0_25:                               ;   in Loop: Header=BB0_3 Depth=1
	s_or_b64 exec, exec, s[76:77]
	s_and_b64 s[74:75], s[74:75], s[6:7]
	s_and_b64 s[74:75], s[74:75], s[22:23]
	;; [unrolled: 1-line block ×4, first 2 shown]
	s_and_saveexec_b64 s[74:75], s[76:77]
	s_cbranch_execz .LBB0_27
; %bb.26:                               ;   in Loop: Header=BB0_3 Depth=1
	global_load_dwordx2 v[20:21], v[6:7], off offset:88
	global_load_dwordx2 v[22:23], v[8:9], off offset:16
	s_waitcnt vmcnt(0)
	v_fmac_f64_e32 v[4:5], v[20:21], v[22:23]
.LBB0_27:                               ;   in Loop: Header=BB0_3 Depth=1
	s_or_b64 exec, exec, s[74:75]
	s_and_b64 s[74:75], s[24:25], s[18:19]
	s_and_b64 s[76:77], s[74:75], vcc
	s_and_b64 s[76:77], s[76:77], s[22:23]
	s_and_b64 s[76:77], s[76:77], s[12:13]
	v_lshl_add_u64 v[8:9], s[62:63], 3, v[8:9]
	s_and_b64 s[88:89], s[76:77], s[0:1]
	s_and_saveexec_b64 s[76:77], s[88:89]
	s_cbranch_execz .LBB0_29
; %bb.28:                               ;   in Loop: Header=BB0_3 Depth=1
	global_load_dwordx2 v[20:21], v[6:7], off offset:96
	global_load_dwordx2 v[22:23], v[8:9], off
	s_waitcnt vmcnt(0)
	v_fmac_f64_e32 v[4:5], v[20:21], v[22:23]
.LBB0_29:                               ;   in Loop: Header=BB0_3 Depth=1
	s_or_b64 exec, exec, s[76:77]
	s_and_b64 s[76:77], s[74:75], s[2:3]
	s_and_b64 s[76:77], s[76:77], s[22:23]
	;; [unrolled: 1-line block ×4, first 2 shown]
	s_and_saveexec_b64 s[76:77], s[88:89]
	s_cbranch_execz .LBB0_31
; %bb.30:                               ;   in Loop: Header=BB0_3 Depth=1
	global_load_dwordx2 v[20:21], v[6:7], off offset:104
	global_load_dwordx2 v[22:23], v[8:9], off offset:8
	s_waitcnt vmcnt(0)
	v_fmac_f64_e32 v[4:5], v[20:21], v[22:23]
.LBB0_31:                               ;   in Loop: Header=BB0_3 Depth=1
	s_or_b64 exec, exec, s[76:77]
	s_and_b64 s[74:75], s[74:75], s[6:7]
	s_and_b64 s[74:75], s[74:75], s[22:23]
	;; [unrolled: 1-line block ×4, first 2 shown]
	s_and_saveexec_b64 s[74:75], s[76:77]
	s_cbranch_execz .LBB0_33
; %bb.32:                               ;   in Loop: Header=BB0_3 Depth=1
	global_load_dwordx2 v[20:21], v[6:7], off offset:112
	global_load_dwordx2 v[22:23], v[8:9], off offset:16
	s_waitcnt vmcnt(0)
	v_fmac_f64_e32 v[4:5], v[20:21], v[22:23]
.LBB0_33:                               ;   in Loop: Header=BB0_3 Depth=1
	s_or_b64 exec, exec, s[74:75]
	s_and_b64 s[24:25], s[24:25], s[20:21]
	s_and_b64 s[74:75], s[24:25], vcc
	s_and_b64 s[74:75], s[74:75], s[22:23]
	s_and_b64 s[74:75], s[74:75], s[14:15]
	v_lshl_add_u64 v[8:9], s[62:63], 3, v[8:9]
	s_and_b64 s[76:77], s[74:75], s[0:1]
	s_and_saveexec_b64 s[74:75], s[76:77]
	s_cbranch_execz .LBB0_35
; %bb.34:                               ;   in Loop: Header=BB0_3 Depth=1
	global_load_dwordx2 v[20:21], v[6:7], off offset:120
	global_load_dwordx2 v[22:23], v[8:9], off
	s_waitcnt vmcnt(0)
	v_fmac_f64_e32 v[4:5], v[20:21], v[22:23]
.LBB0_35:                               ;   in Loop: Header=BB0_3 Depth=1
	s_or_b64 exec, exec, s[74:75]
	s_and_b64 s[74:75], s[24:25], s[2:3]
	s_and_b64 s[74:75], s[74:75], s[22:23]
	;; [unrolled: 1-line block ×4, first 2 shown]
	s_and_saveexec_b64 s[74:75], s[76:77]
	s_cbranch_execz .LBB0_37
; %bb.36:                               ;   in Loop: Header=BB0_3 Depth=1
	global_load_dwordx2 v[20:21], v[6:7], off offset:128
	global_load_dwordx2 v[22:23], v[8:9], off offset:8
	s_waitcnt vmcnt(0)
	v_fmac_f64_e32 v[4:5], v[20:21], v[22:23]
.LBB0_37:                               ;   in Loop: Header=BB0_3 Depth=1
	s_or_b64 exec, exec, s[74:75]
	s_and_b64 s[24:25], s[24:25], s[6:7]
	s_and_b64 s[22:23], s[24:25], s[22:23]
	;; [unrolled: 1-line block ×4, first 2 shown]
	s_and_saveexec_b64 s[22:23], s[24:25]
	s_cbranch_execz .LBB0_39
; %bb.38:                               ;   in Loop: Header=BB0_3 Depth=1
	global_load_dwordx2 v[20:21], v[6:7], off offset:136
	global_load_dwordx2 v[22:23], v[8:9], off offset:16
	s_waitcnt vmcnt(0)
	v_fmac_f64_e32 v[4:5], v[20:21], v[22:23]
.LBB0_39:                               ;   in Loop: Header=BB0_3 Depth=1
	s_or_b64 exec, exec, s[22:23]
	v_cmp_lt_i32_e64 s[24:25], -3, v19
	v_add_u32_e32 v20, 2, v19
	s_and_b64 s[16:17], s[24:25], s[16:17]
	v_cmp_gt_i32_e64 s[22:23], s29, v20
	s_and_b64 s[74:75], s[16:17], vcc
	s_and_b64 s[74:75], s[74:75], s[22:23]
	v_lshl_add_u64 v[8:9], s[62:63], 3, v[8:9]
	s_and_b64 s[74:75], s[74:75], s[10:11]
	v_lshl_add_u64 v[8:9], s[64:65], 3, v[8:9]
	s_and_b64 s[76:77], s[74:75], s[0:1]
	s_and_saveexec_b64 s[74:75], s[76:77]
	s_cbranch_execz .LBB0_41
; %bb.40:                               ;   in Loop: Header=BB0_3 Depth=1
	global_load_dwordx2 v[20:21], v[6:7], off offset:144
	global_load_dwordx2 v[22:23], v[8:9], off
	s_waitcnt vmcnt(0)
	v_fmac_f64_e32 v[4:5], v[20:21], v[22:23]
.LBB0_41:                               ;   in Loop: Header=BB0_3 Depth=1
	s_or_b64 exec, exec, s[74:75]
	s_and_b64 s[74:75], s[16:17], s[2:3]
	s_and_b64 s[74:75], s[74:75], s[22:23]
	;; [unrolled: 1-line block ×4, first 2 shown]
	s_and_saveexec_b64 s[74:75], s[76:77]
	s_cbranch_execz .LBB0_43
; %bb.42:                               ;   in Loop: Header=BB0_3 Depth=1
	global_load_dwordx2 v[20:21], v[6:7], off offset:152
	global_load_dwordx2 v[22:23], v[8:9], off offset:8
	s_waitcnt vmcnt(0)
	v_fmac_f64_e32 v[4:5], v[20:21], v[22:23]
.LBB0_43:                               ;   in Loop: Header=BB0_3 Depth=1
	s_or_b64 exec, exec, s[74:75]
	s_and_b64 s[16:17], s[16:17], s[6:7]
	s_and_b64 s[16:17], s[16:17], s[22:23]
	;; [unrolled: 1-line block ×4, first 2 shown]
	s_and_saveexec_b64 s[10:11], s[16:17]
	s_cbranch_execz .LBB0_45
; %bb.44:                               ;   in Loop: Header=BB0_3 Depth=1
	global_load_dwordx2 v[20:21], v[6:7], off offset:160
	global_load_dwordx2 v[22:23], v[8:9], off offset:16
	s_waitcnt vmcnt(0)
	v_fmac_f64_e32 v[4:5], v[20:21], v[22:23]
.LBB0_45:                               ;   in Loop: Header=BB0_3 Depth=1
	s_or_b64 exec, exec, s[10:11]
	s_and_b64 s[10:11], s[24:25], s[18:19]
	s_and_b64 s[16:17], s[10:11], vcc
	s_and_b64 s[16:17], s[16:17], s[22:23]
	s_and_b64 s[16:17], s[16:17], s[12:13]
	v_lshl_add_u64 v[8:9], s[62:63], 3, v[8:9]
	s_and_b64 s[18:19], s[16:17], s[0:1]
	s_and_saveexec_b64 s[16:17], s[18:19]
	s_cbranch_execz .LBB0_47
; %bb.46:                               ;   in Loop: Header=BB0_3 Depth=1
	global_load_dwordx2 v[20:21], v[6:7], off offset:168
	global_load_dwordx2 v[22:23], v[8:9], off
	s_waitcnt vmcnt(0)
	v_fmac_f64_e32 v[4:5], v[20:21], v[22:23]
.LBB0_47:                               ;   in Loop: Header=BB0_3 Depth=1
	s_or_b64 exec, exec, s[16:17]
	s_and_b64 s[16:17], s[10:11], s[2:3]
	s_and_b64 s[16:17], s[16:17], s[22:23]
	;; [unrolled: 1-line block ×4, first 2 shown]
	s_and_saveexec_b64 s[16:17], s[18:19]
	s_cbranch_execz .LBB0_49
; %bb.48:                               ;   in Loop: Header=BB0_3 Depth=1
	global_load_dwordx2 v[20:21], v[6:7], off offset:176
	global_load_dwordx2 v[22:23], v[8:9], off offset:8
	s_waitcnt vmcnt(0)
	v_fmac_f64_e32 v[4:5], v[20:21], v[22:23]
.LBB0_49:                               ;   in Loop: Header=BB0_3 Depth=1
	s_or_b64 exec, exec, s[16:17]
	s_and_b64 s[10:11], s[10:11], s[6:7]
	s_and_b64 s[10:11], s[10:11], s[22:23]
	;; [unrolled: 1-line block ×4, first 2 shown]
	s_and_saveexec_b64 s[10:11], s[12:13]
	s_cbranch_execz .LBB0_51
; %bb.50:                               ;   in Loop: Header=BB0_3 Depth=1
	global_load_dwordx2 v[20:21], v[6:7], off offset:184
	global_load_dwordx2 v[22:23], v[8:9], off offset:16
	s_waitcnt vmcnt(0)
	v_fmac_f64_e32 v[4:5], v[20:21], v[22:23]
.LBB0_51:                               ;   in Loop: Header=BB0_3 Depth=1
	s_or_b64 exec, exec, s[10:11]
	s_and_b64 s[10:11], s[24:25], s[20:21]
	s_and_b64 s[12:13], s[10:11], vcc
	s_and_b64 s[12:13], s[12:13], s[22:23]
	s_and_b64 s[12:13], s[12:13], s[14:15]
	v_lshl_add_u64 v[8:9], s[62:63], 3, v[8:9]
	s_and_b64 s[12:13], s[12:13], s[0:1]
	s_and_saveexec_b64 s[0:1], s[12:13]
	s_cbranch_execz .LBB0_53
; %bb.52:                               ;   in Loop: Header=BB0_3 Depth=1
	global_load_dwordx2 v[20:21], v[6:7], off offset:192
	global_load_dwordx2 v[22:23], v[8:9], off
	s_waitcnt vmcnt(0)
	v_fmac_f64_e32 v[4:5], v[20:21], v[22:23]
.LBB0_53:                               ;   in Loop: Header=BB0_3 Depth=1
	s_or_b64 exec, exec, s[0:1]
	s_and_b64 s[0:1], s[10:11], s[2:3]
	s_and_b64 s[0:1], s[0:1], s[22:23]
	;; [unrolled: 1-line block ×4, first 2 shown]
	s_and_saveexec_b64 s[0:1], s[2:3]
	s_cbranch_execz .LBB0_55
; %bb.54:                               ;   in Loop: Header=BB0_3 Depth=1
	global_load_dwordx2 v[20:21], v[6:7], off offset:200
	global_load_dwordx2 v[22:23], v[8:9], off offset:8
	s_waitcnt vmcnt(0)
	v_fmac_f64_e32 v[4:5], v[20:21], v[22:23]
.LBB0_55:                               ;   in Loop: Header=BB0_3 Depth=1
	s_or_b64 exec, exec, s[0:1]
	s_and_b64 s[0:1], s[10:11], s[6:7]
	s_and_b64 s[0:1], s[0:1], s[22:23]
	;; [unrolled: 1-line block ×4, first 2 shown]
	s_and_saveexec_b64 s[0:1], s[2:3]
	s_cbranch_execz .LBB0_57
; %bb.56:                               ;   in Loop: Header=BB0_3 Depth=1
	global_load_dwordx2 v[6:7], v[6:7], off offset:208
	s_nop 0
	global_load_dwordx2 v[8:9], v[8:9], off offset:16
	s_waitcnt vmcnt(0)
	v_fmac_f64_e32 v[4:5], v[6:7], v[8:9]
.LBB0_57:                               ;   in Loop: Header=BB0_3 Depth=1
	s_or_b64 exec, exec, s[0:1]
	s_andn2_b64 vcc, exec, s[66:67]
	s_cbranch_vccnz .LBB0_2
; %bb.58:                               ;   in Loop: Header=BB0_3 Depth=1
	v_lshl_add_u64 v[6:7], v[2:3], 3, s[58:59]
	global_load_dwordx2 v[6:7], v[6:7], off
	s_waitcnt vmcnt(0)
	v_add_f64 v[4:5], v[4:5], v[6:7]
	s_branch .LBB0_2
.LBB0_59:
	s_endpgm
	.section	.rodata,"a",@progbits
	.p2align	6, 0x0
	.amdhsa_kernel _ZN2at6native12_GLOBAL__N_128conv_depthwise3d_cuda_kernelIddLi3ELi3ELi3ELi1ELi1ELi1EEEvN5torch10headeronly6detail27GenericPackedTensorAccessorINS5_14TensorAccessorIN3c108ArrayRefIlEEKT_Lm4ENS4_16DefaultPtrTraitsEiEENS_6detail16IndexBoundsCheckILm5EiEESC_Lm5ESD_iEENS6_INS7_ISA_SB_Lm4ESD_iEESH_SB_Lm5ESD_iEESI_PSC_iiiiiiiii
		.amdhsa_group_segment_fixed_size 0
		.amdhsa_private_segment_fixed_size 0
		.amdhsa_kernarg_size 448
		.amdhsa_user_sgpr_count 2
		.amdhsa_user_sgpr_dispatch_ptr 0
		.amdhsa_user_sgpr_queue_ptr 0
		.amdhsa_user_sgpr_kernarg_segment_ptr 1
		.amdhsa_user_sgpr_dispatch_id 0
		.amdhsa_user_sgpr_kernarg_preload_length 0
		.amdhsa_user_sgpr_kernarg_preload_offset 0
		.amdhsa_user_sgpr_private_segment_size 0
		.amdhsa_uses_dynamic_stack 0
		.amdhsa_enable_private_segment 0
		.amdhsa_system_sgpr_workgroup_id_x 1
		.amdhsa_system_sgpr_workgroup_id_y 0
		.amdhsa_system_sgpr_workgroup_id_z 0
		.amdhsa_system_sgpr_workgroup_info 0
		.amdhsa_system_vgpr_workitem_id 0
		.amdhsa_next_free_vgpr 26
		.amdhsa_next_free_sgpr 90
		.amdhsa_accum_offset 28
		.amdhsa_reserve_vcc 1
		.amdhsa_float_round_mode_32 0
		.amdhsa_float_round_mode_16_64 0
		.amdhsa_float_denorm_mode_32 3
		.amdhsa_float_denorm_mode_16_64 3
		.amdhsa_dx10_clamp 1
		.amdhsa_ieee_mode 1
		.amdhsa_fp16_overflow 0
		.amdhsa_tg_split 0
		.amdhsa_exception_fp_ieee_invalid_op 0
		.amdhsa_exception_fp_denorm_src 0
		.amdhsa_exception_fp_ieee_div_zero 0
		.amdhsa_exception_fp_ieee_overflow 0
		.amdhsa_exception_fp_ieee_underflow 0
		.amdhsa_exception_fp_ieee_inexact 0
		.amdhsa_exception_int_div_zero 0
	.end_amdhsa_kernel
	.section	.text._ZN2at6native12_GLOBAL__N_128conv_depthwise3d_cuda_kernelIddLi3ELi3ELi3ELi1ELi1ELi1EEEvN5torch10headeronly6detail27GenericPackedTensorAccessorINS5_14TensorAccessorIN3c108ArrayRefIlEEKT_Lm4ENS4_16DefaultPtrTraitsEiEENS_6detail16IndexBoundsCheckILm5EiEESC_Lm5ESD_iEENS6_INS7_ISA_SB_Lm4ESD_iEESH_SB_Lm5ESD_iEESI_PSC_iiiiiiiii,"axG",@progbits,_ZN2at6native12_GLOBAL__N_128conv_depthwise3d_cuda_kernelIddLi3ELi3ELi3ELi1ELi1ELi1EEEvN5torch10headeronly6detail27GenericPackedTensorAccessorINS5_14TensorAccessorIN3c108ArrayRefIlEEKT_Lm4ENS4_16DefaultPtrTraitsEiEENS_6detail16IndexBoundsCheckILm5EiEESC_Lm5ESD_iEENS6_INS7_ISA_SB_Lm4ESD_iEESH_SB_Lm5ESD_iEESI_PSC_iiiiiiiii,comdat
.Lfunc_end0:
	.size	_ZN2at6native12_GLOBAL__N_128conv_depthwise3d_cuda_kernelIddLi3ELi3ELi3ELi1ELi1ELi1EEEvN5torch10headeronly6detail27GenericPackedTensorAccessorINS5_14TensorAccessorIN3c108ArrayRefIlEEKT_Lm4ENS4_16DefaultPtrTraitsEiEENS_6detail16IndexBoundsCheckILm5EiEESC_Lm5ESD_iEENS6_INS7_ISA_SB_Lm4ESD_iEESH_SB_Lm5ESD_iEESI_PSC_iiiiiiiii, .Lfunc_end0-_ZN2at6native12_GLOBAL__N_128conv_depthwise3d_cuda_kernelIddLi3ELi3ELi3ELi1ELi1ELi1EEEvN5torch10headeronly6detail27GenericPackedTensorAccessorINS5_14TensorAccessorIN3c108ArrayRefIlEEKT_Lm4ENS4_16DefaultPtrTraitsEiEENS_6detail16IndexBoundsCheckILm5EiEESC_Lm5ESD_iEENS6_INS7_ISA_SB_Lm4ESD_iEESH_SB_Lm5ESD_iEESI_PSC_iiiiiiiii
                                        ; -- End function
	.set _ZN2at6native12_GLOBAL__N_128conv_depthwise3d_cuda_kernelIddLi3ELi3ELi3ELi1ELi1ELi1EEEvN5torch10headeronly6detail27GenericPackedTensorAccessorINS5_14TensorAccessorIN3c108ArrayRefIlEEKT_Lm4ENS4_16DefaultPtrTraitsEiEENS_6detail16IndexBoundsCheckILm5EiEESC_Lm5ESD_iEENS6_INS7_ISA_SB_Lm4ESD_iEESH_SB_Lm5ESD_iEESI_PSC_iiiiiiiii.num_vgpr, 26
	.set _ZN2at6native12_GLOBAL__N_128conv_depthwise3d_cuda_kernelIddLi3ELi3ELi3ELi1ELi1ELi1EEEvN5torch10headeronly6detail27GenericPackedTensorAccessorINS5_14TensorAccessorIN3c108ArrayRefIlEEKT_Lm4ENS4_16DefaultPtrTraitsEiEENS_6detail16IndexBoundsCheckILm5EiEESC_Lm5ESD_iEENS6_INS7_ISA_SB_Lm4ESD_iEESH_SB_Lm5ESD_iEESI_PSC_iiiiiiiii.num_agpr, 0
	.set _ZN2at6native12_GLOBAL__N_128conv_depthwise3d_cuda_kernelIddLi3ELi3ELi3ELi1ELi1ELi1EEEvN5torch10headeronly6detail27GenericPackedTensorAccessorINS5_14TensorAccessorIN3c108ArrayRefIlEEKT_Lm4ENS4_16DefaultPtrTraitsEiEENS_6detail16IndexBoundsCheckILm5EiEESC_Lm5ESD_iEENS6_INS7_ISA_SB_Lm4ESD_iEESH_SB_Lm5ESD_iEESI_PSC_iiiiiiiii.numbered_sgpr, 90
	.set _ZN2at6native12_GLOBAL__N_128conv_depthwise3d_cuda_kernelIddLi3ELi3ELi3ELi1ELi1ELi1EEEvN5torch10headeronly6detail27GenericPackedTensorAccessorINS5_14TensorAccessorIN3c108ArrayRefIlEEKT_Lm4ENS4_16DefaultPtrTraitsEiEENS_6detail16IndexBoundsCheckILm5EiEESC_Lm5ESD_iEENS6_INS7_ISA_SB_Lm4ESD_iEESH_SB_Lm5ESD_iEESI_PSC_iiiiiiiii.num_named_barrier, 0
	.set _ZN2at6native12_GLOBAL__N_128conv_depthwise3d_cuda_kernelIddLi3ELi3ELi3ELi1ELi1ELi1EEEvN5torch10headeronly6detail27GenericPackedTensorAccessorINS5_14TensorAccessorIN3c108ArrayRefIlEEKT_Lm4ENS4_16DefaultPtrTraitsEiEENS_6detail16IndexBoundsCheckILm5EiEESC_Lm5ESD_iEENS6_INS7_ISA_SB_Lm4ESD_iEESH_SB_Lm5ESD_iEESI_PSC_iiiiiiiii.private_seg_size, 0
	.set _ZN2at6native12_GLOBAL__N_128conv_depthwise3d_cuda_kernelIddLi3ELi3ELi3ELi1ELi1ELi1EEEvN5torch10headeronly6detail27GenericPackedTensorAccessorINS5_14TensorAccessorIN3c108ArrayRefIlEEKT_Lm4ENS4_16DefaultPtrTraitsEiEENS_6detail16IndexBoundsCheckILm5EiEESC_Lm5ESD_iEENS6_INS7_ISA_SB_Lm4ESD_iEESH_SB_Lm5ESD_iEESI_PSC_iiiiiiiii.uses_vcc, 1
	.set _ZN2at6native12_GLOBAL__N_128conv_depthwise3d_cuda_kernelIddLi3ELi3ELi3ELi1ELi1ELi1EEEvN5torch10headeronly6detail27GenericPackedTensorAccessorINS5_14TensorAccessorIN3c108ArrayRefIlEEKT_Lm4ENS4_16DefaultPtrTraitsEiEENS_6detail16IndexBoundsCheckILm5EiEESC_Lm5ESD_iEENS6_INS7_ISA_SB_Lm4ESD_iEESH_SB_Lm5ESD_iEESI_PSC_iiiiiiiii.uses_flat_scratch, 0
	.set _ZN2at6native12_GLOBAL__N_128conv_depthwise3d_cuda_kernelIddLi3ELi3ELi3ELi1ELi1ELi1EEEvN5torch10headeronly6detail27GenericPackedTensorAccessorINS5_14TensorAccessorIN3c108ArrayRefIlEEKT_Lm4ENS4_16DefaultPtrTraitsEiEENS_6detail16IndexBoundsCheckILm5EiEESC_Lm5ESD_iEENS6_INS7_ISA_SB_Lm4ESD_iEESH_SB_Lm5ESD_iEESI_PSC_iiiiiiiii.has_dyn_sized_stack, 0
	.set _ZN2at6native12_GLOBAL__N_128conv_depthwise3d_cuda_kernelIddLi3ELi3ELi3ELi1ELi1ELi1EEEvN5torch10headeronly6detail27GenericPackedTensorAccessorINS5_14TensorAccessorIN3c108ArrayRefIlEEKT_Lm4ENS4_16DefaultPtrTraitsEiEENS_6detail16IndexBoundsCheckILm5EiEESC_Lm5ESD_iEENS6_INS7_ISA_SB_Lm4ESD_iEESH_SB_Lm5ESD_iEESI_PSC_iiiiiiiii.has_recursion, 0
	.set _ZN2at6native12_GLOBAL__N_128conv_depthwise3d_cuda_kernelIddLi3ELi3ELi3ELi1ELi1ELi1EEEvN5torch10headeronly6detail27GenericPackedTensorAccessorINS5_14TensorAccessorIN3c108ArrayRefIlEEKT_Lm4ENS4_16DefaultPtrTraitsEiEENS_6detail16IndexBoundsCheckILm5EiEESC_Lm5ESD_iEENS6_INS7_ISA_SB_Lm4ESD_iEESH_SB_Lm5ESD_iEESI_PSC_iiiiiiiii.has_indirect_call, 0
	.section	.AMDGPU.csdata,"",@progbits
; Kernel info:
; codeLenInByte = 3108
; TotalNumSgprs: 96
; NumVgprs: 26
; NumAgprs: 0
; TotalNumVgprs: 26
; ScratchSize: 0
; MemoryBound: 1
; FloatMode: 240
; IeeeMode: 1
; LDSByteSize: 0 bytes/workgroup (compile time only)
; SGPRBlocks: 11
; VGPRBlocks: 3
; NumSGPRsForWavesPerEU: 96
; NumVGPRsForWavesPerEU: 26
; AccumOffset: 28
; Occupancy: 8
; WaveLimiterHint : 0
; COMPUTE_PGM_RSRC2:SCRATCH_EN: 0
; COMPUTE_PGM_RSRC2:USER_SGPR: 2
; COMPUTE_PGM_RSRC2:TRAP_HANDLER: 0
; COMPUTE_PGM_RSRC2:TGID_X_EN: 1
; COMPUTE_PGM_RSRC2:TGID_Y_EN: 0
; COMPUTE_PGM_RSRC2:TGID_Z_EN: 0
; COMPUTE_PGM_RSRC2:TIDIG_COMP_CNT: 0
; COMPUTE_PGM_RSRC3_GFX90A:ACCUM_OFFSET: 6
; COMPUTE_PGM_RSRC3_GFX90A:TG_SPLIT: 0
	.section	.text._ZN2at6native12_GLOBAL__N_128conv_depthwise3d_cuda_kernelIddLin1ELin1ELin1ELi1ELi1ELi1EEEvN5torch10headeronly6detail27GenericPackedTensorAccessorINS5_14TensorAccessorIN3c108ArrayRefIlEEKT_Lm4ENS4_16DefaultPtrTraitsEiEENS_6detail16IndexBoundsCheckILm5EiEESC_Lm5ESD_iEENS6_INS7_ISA_SB_Lm4ESD_iEESH_SB_Lm5ESD_iEESI_PSC_iiiiiiiii,"axG",@progbits,_ZN2at6native12_GLOBAL__N_128conv_depthwise3d_cuda_kernelIddLin1ELin1ELin1ELi1ELi1ELi1EEEvN5torch10headeronly6detail27GenericPackedTensorAccessorINS5_14TensorAccessorIN3c108ArrayRefIlEEKT_Lm4ENS4_16DefaultPtrTraitsEiEENS_6detail16IndexBoundsCheckILm5EiEESC_Lm5ESD_iEENS6_INS7_ISA_SB_Lm4ESD_iEESH_SB_Lm5ESD_iEESI_PSC_iiiiiiiii,comdat
	.globl	_ZN2at6native12_GLOBAL__N_128conv_depthwise3d_cuda_kernelIddLin1ELin1ELin1ELi1ELi1ELi1EEEvN5torch10headeronly6detail27GenericPackedTensorAccessorINS5_14TensorAccessorIN3c108ArrayRefIlEEKT_Lm4ENS4_16DefaultPtrTraitsEiEENS_6detail16IndexBoundsCheckILm5EiEESC_Lm5ESD_iEENS6_INS7_ISA_SB_Lm4ESD_iEESH_SB_Lm5ESD_iEESI_PSC_iiiiiiiii ; -- Begin function _ZN2at6native12_GLOBAL__N_128conv_depthwise3d_cuda_kernelIddLin1ELin1ELin1ELi1ELi1ELi1EEEvN5torch10headeronly6detail27GenericPackedTensorAccessorINS5_14TensorAccessorIN3c108ArrayRefIlEEKT_Lm4ENS4_16DefaultPtrTraitsEiEENS_6detail16IndexBoundsCheckILm5EiEESC_Lm5ESD_iEENS6_INS7_ISA_SB_Lm4ESD_iEESH_SB_Lm5ESD_iEESI_PSC_iiiiiiiii
	.p2align	8
	.type	_ZN2at6native12_GLOBAL__N_128conv_depthwise3d_cuda_kernelIddLin1ELin1ELin1ELi1ELi1ELi1EEEvN5torch10headeronly6detail27GenericPackedTensorAccessorINS5_14TensorAccessorIN3c108ArrayRefIlEEKT_Lm4ENS4_16DefaultPtrTraitsEiEENS_6detail16IndexBoundsCheckILm5EiEESC_Lm5ESD_iEENS6_INS7_ISA_SB_Lm4ESD_iEESH_SB_Lm5ESD_iEESI_PSC_iiiiiiiii,@function
_ZN2at6native12_GLOBAL__N_128conv_depthwise3d_cuda_kernelIddLin1ELin1ELin1ELi1ELi1ELi1EEEvN5torch10headeronly6detail27GenericPackedTensorAccessorINS5_14TensorAccessorIN3c108ArrayRefIlEEKT_Lm4ENS4_16DefaultPtrTraitsEiEENS_6detail16IndexBoundsCheckILm5EiEESC_Lm5ESD_iEENS6_INS7_ISA_SB_Lm4ESD_iEESH_SB_Lm5ESD_iEESI_PSC_iiiiiiiii: ; @_ZN2at6native12_GLOBAL__N_128conv_depthwise3d_cuda_kernelIddLin1ELin1ELin1ELi1ELi1ELi1EEEvN5torch10headeronly6detail27GenericPackedTensorAccessorINS5_14TensorAccessorIN3c108ArrayRefIlEEKT_Lm4ENS4_16DefaultPtrTraitsEiEENS_6detail16IndexBoundsCheckILm5EiEESC_Lm5ESD_iEENS6_INS7_ISA_SB_Lm4ESD_iEESH_SB_Lm5ESD_iEESI_PSC_iiiiiiiii
; %bb.0:
	s_load_dwordx4 s[8:11], s[0:1], 0xc
	s_load_dwordx4 s[12:15], s[0:1], 0x38
	s_load_dwordx2 s[6:7], s[0:1], 0x48
	s_load_dword s4, s[0:1], 0xcc
	v_mov_b32_e32 v3, s2
	s_waitcnt lgkmcnt(0)
	s_abs_i32 s5, s8
	v_cvt_f32_u32_e32 v2, s5
	s_add_u32 s2, s0, 0xc0
	v_mov_b32_e32 v1, 0
	s_mul_i32 s34, s7, s12
	v_rcp_iflag_f32_e32 v2, v2
	s_addc_u32 s3, s1, 0
	s_and_b32 s4, s4, 0xffff
	v_mad_u64_u32 v[0:1], s[16:17], s4, v3, v[0:1]
	v_mul_f32_e32 v2, 0x4f7ffffe, v2
	v_cvt_u32_f32_e32 v2, v2
	s_ashr_i32 s35, s34, 31
	v_cmp_gt_i64_e32 vcc, s[34:35], v[0:1]
	v_readfirstlane_b32 s16, v2
	s_and_saveexec_b64 s[18:19], vcc
	s_cbranch_execz .LBB1_17
; %bb.1:
	s_sub_i32 s17, 0, s5
	s_mul_i32 s17, s17, s16
	s_mul_hi_u32 s17, s16, s17
	s_ashr_i32 s24, s8, 31
	s_abs_i32 s8, s13
	s_add_i32 s16, s16, s17
	s_ashr_i32 s12, s13, 31
	s_mul_hi_u32 s25, s8, s16
	s_load_dwordx2 s[38:39], s[0:1], 0x90
	s_load_dwordx4 s[16:19], s[0:1], 0x98
	s_load_dwordx2 s[40:41], s[0:1], 0xa8
	s_load_dwordx4 s[20:23], s[0:1], 0x70
	s_waitcnt lgkmcnt(0)
	s_xor_b32 s23, s12, s24
	s_mul_i32 s24, s25, s5
	s_sub_i32 s24, s8, s24
	s_add_i32 s26, s25, 1
	s_sub_i32 s27, s24, s5
	s_cmp_ge_u32 s24, s5
	s_cselect_b32 s25, s26, s25
	s_cselect_b32 s24, s27, s24
	s_add_i32 s26, s25, 1
	s_cmp_ge_u32 s24, s5
	s_cselect_b32 s5, s26, s25
	s_xor_b32 s5, s5, s23
	s_sub_i32 s5, s5, s23
	s_cmp_gt_i32 s20, 0
	s_cselect_b64 s[44:45], -1, 0
	s_cmp_gt_i32 s21, 0
	s_cselect_b64 s[46:47], -1, 0
	s_cmp_gt_i32 s22, 0
	s_load_dword s36, s[2:3], 0x0
	s_load_dword s23, s[0:1], 0x7c
	s_load_dwordx2 s[42:43], s[0:1], 0x0
	s_load_dwordx4 s[24:27], s[0:1], 0x1c
	s_cselect_b64 s[48:49], -1, 0
	s_sub_i32 s2, s10, s21
	s_sub_i32 s50, s11, s22
	s_mul_i32 s52, s11, s2
	s_ashr_i32 s51, s50, 31
	s_ashr_i32 s53, s52, 31
	s_cmp_lg_u64 s[38:39], 0
	s_cselect_b64 s[54:55], -1, 0
	s_abs_i32 s33, s6
	v_cvt_f32_u32_e32 v2, s33
	s_abs_i32 s65, s15
	v_cvt_f32_u32_e32 v3, s65
	s_load_dword s64, s[0:1], 0x2c
	s_load_dwordx2 s[56:57], s[0:1], 0x30
	v_rcp_iflag_f32_e32 v2, v2
	s_load_dwordx2 s[60:61], s[0:1], 0x60
	s_load_dwordx4 s[28:31], s[0:1], 0x50
	v_rcp_iflag_f32_e32 v3, v3
	s_sub_i32 s0, 0, s33
	v_mul_f32_e32 v2, 0x4f7ffffe, v2
	v_cvt_u32_f32_e32 v2, v2
	s_abs_i32 s67, s14
	s_abs_i32 s70, s5
	v_cvt_f32_u32_e32 v5, s70
	v_mul_lo_u32 v4, s0, v2
	v_mul_hi_u32 v4, v2, v4
	v_add_u32_e32 v10, v2, v4
	v_mul_f32_e32 v2, 0x4f7ffffe, v3
	v_cvt_f32_u32_e32 v3, s67
	v_cvt_u32_f32_e32 v2, v2
	s_sub_i32 s0, 0, s65
	s_mov_b32 s37, 0
	v_rcp_iflag_f32_e32 v3, v3
	v_mul_lo_u32 v4, s0, v2
	v_mul_hi_u32 v4, v2, v4
	v_add_u32_e32 v11, v2, v4
	v_mul_f32_e32 v2, 0x4f7ffffe, v3
	v_cvt_u32_f32_e32 v2, v2
	v_cvt_f32_u32_e32 v3, s8
	s_sub_i32 s0, 0, s67
	s_mov_b64 s[58:59], 0
	v_mul_lo_u32 v4, s0, v2
	v_rcp_iflag_f32_e32 v3, v3
	v_mul_hi_u32 v4, v2, v4
	v_add_u32_e32 v12, v2, v4
	v_rcp_iflag_f32_e32 v2, v5
	v_mul_f32_e32 v3, 0x4f7ffffe, v3
	v_cvt_u32_f32_e32 v3, v3
	s_sub_i32 s0, 0, s8
	v_mul_f32_e32 v2, 0x4f7ffffe, v2
	v_cvt_u32_f32_e32 v2, v2
	v_mul_lo_u32 v4, s0, v3
	v_mul_hi_u32 v4, v3, v4
	s_sub_i32 s0, 0, s70
	v_add_u32_e32 v13, v3, v4
	v_mul_lo_u32 v3, s0, v2
	v_mul_hi_u32 v3, v2, v3
	s_waitcnt lgkmcnt(0)
	s_mul_i32 s36, s36, s4
	s_ashr_i32 s66, s6, 31
	s_ashr_i32 s68, s15, 31
	;; [unrolled: 1-line block ×4, first 2 shown]
	v_add_u32_e32 v14, v2, v3
	s_branch .LBB1_3
.LBB1_2:                                ;   in Loop: Header=BB1_3 Depth=1
	v_mul_lo_u32 v6, v18, s7
	v_ashrrev_i32_e32 v7, 31, v6
	v_mul_lo_u32 v2, s28, v2
	v_lshl_add_u64 v[6:7], v[6:7], 3, s[56:57]
	v_ashrrev_i32_e32 v3, 31, v2
	v_lshl_add_u64 v[2:3], v[2:3], 3, v[6:7]
	v_mul_lo_u32 v6, s29, v17
	v_ashrrev_i32_e32 v7, 31, v6
	v_lshl_add_u64 v[2:3], v[6:7], 3, v[2:3]
	v_mul_lo_u32 v6, s30, v16
	v_ashrrev_i32_e32 v7, 31, v6
	v_lshl_add_u64 v[2:3], v[6:7], 3, v[2:3]
	v_mul_lo_u32 v6, s31, v15
	v_lshl_add_u64 v[0:1], v[0:1], 0, s[36:37]
	v_ashrrev_i32_e32 v7, 31, v6
	v_cmp_le_i64_e32 vcc, s[34:35], v[0:1]
	v_lshl_add_u64 v[2:3], v[6:7], 3, v[2:3]
	s_or_b64 s[58:59], vcc, s[58:59]
	global_store_dwordx2 v[2:3], v[4:5], off
	s_andn2_b64 exec, exec, s[58:59]
	s_cbranch_execz .LBB1_17
.LBB1_3:                                ; =>This Loop Header: Depth=1
                                        ;     Child Loop BB1_6 Depth 2
                                        ;       Child Loop BB1_9 Depth 3
                                        ;         Child Loop BB1_12 Depth 4
	v_sub_u32_e32 v3, 0, v0
	v_max_i32_e32 v3, v0, v3
	v_mul_hi_u32 v4, v3, v10
	v_mul_lo_u32 v5, v4, s33
	v_sub_u32_e32 v3, v3, v5
	v_add_u32_e32 v5, 1, v4
	v_cmp_le_u32_e32 vcc, s33, v3
	v_ashrrev_i32_e32 v2, 31, v0
	v_xor_b32_e32 v2, s66, v2
	v_cndmask_b32_e32 v4, v4, v5, vcc
	v_subrev_u32_e32 v5, s33, v3
	v_cndmask_b32_e32 v3, v3, v5, vcc
	v_add_u32_e32 v5, 1, v4
	v_cmp_le_u32_e32 vcc, s33, v3
	s_nop 1
	v_cndmask_b32_e32 v3, v4, v5, vcc
	v_xor_b32_e32 v3, v3, v2
	v_sub_u32_e32 v2, v3, v2
	v_sub_u32_e32 v4, 0, v2
	v_max_i32_e32 v4, v2, v4
	v_mul_hi_u32 v5, v4, v11
	v_mul_lo_u32 v6, v5, s65
	v_sub_u32_e32 v4, v4, v6
	v_add_u32_e32 v6, 1, v5
	v_cmp_le_u32_e32 vcc, s65, v4
	v_mul_lo_u32 v3, v2, s6
	v_sub_u32_e32 v15, v0, v3
	v_cndmask_b32_e32 v5, v5, v6, vcc
	v_subrev_u32_e32 v6, s65, v4
	v_cndmask_b32_e32 v4, v4, v6, vcc
	v_ashrrev_i32_e32 v3, 31, v2
	v_add_u32_e32 v6, 1, v5
	v_cmp_le_u32_e32 vcc, s65, v4
	v_xor_b32_e32 v3, s68, v3
	s_nop 0
	v_cndmask_b32_e32 v4, v5, v6, vcc
	v_xor_b32_e32 v4, v4, v3
	v_sub_u32_e32 v3, v4, v3
	v_mul_lo_u32 v4, v3, s15
	v_sub_u32_e32 v16, v2, v4
	v_sub_u32_e32 v4, 0, v3
	v_max_i32_e32 v4, v3, v4
	v_mul_hi_u32 v5, v4, v12
	v_mul_lo_u32 v6, v5, s67
	v_sub_u32_e32 v4, v4, v6
	v_add_u32_e32 v6, 1, v5
	v_cmp_le_u32_e32 vcc, s67, v4
	v_ashrrev_i32_e32 v2, 31, v3
	v_xor_b32_e32 v2, s69, v2
	v_cndmask_b32_e32 v5, v5, v6, vcc
	v_subrev_u32_e32 v6, s67, v4
	v_cndmask_b32_e32 v4, v4, v6, vcc
	v_add_u32_e32 v6, 1, v5
	v_cmp_le_u32_e32 vcc, s67, v4
	s_nop 1
	v_cndmask_b32_e32 v4, v5, v6, vcc
	v_xor_b32_e32 v4, v4, v2
	v_sub_u32_e32 v2, v4, v2
	v_mul_lo_u32 v4, v2, s14
	v_sub_u32_e32 v17, v3, v4
	v_sub_u32_e32 v4, 0, v2
	v_max_i32_e32 v4, v2, v4
	v_mul_hi_u32 v5, v4, v13
	v_mul_lo_u32 v6, v5, s8
	v_sub_u32_e32 v4, v4, v6
	v_add_u32_e32 v6, 1, v5
	v_cmp_le_u32_e32 vcc, s8, v4
	v_ashrrev_i32_e32 v3, 31, v2
	v_xor_b32_e32 v3, s12, v3
	v_cndmask_b32_e32 v5, v5, v6, vcc
	v_subrev_u32_e32 v6, s8, v4
	v_cndmask_b32_e32 v4, v4, v6, vcc
	v_add_u32_e32 v6, 1, v5
	v_cmp_le_u32_e32 vcc, s8, v4
	s_nop 1
	v_cndmask_b32_e32 v4, v5, v6, vcc
	v_xor_b32_e32 v4, v4, v3
	v_sub_u32_e32 v18, v4, v3
	v_mul_lo_u32 v3, v18, s13
	v_sub_u32_e32 v2, v2, v3
	s_andn2_b64 vcc, exec, s[44:45]
	v_ashrrev_i32_e32 v3, 31, v2
	s_cbranch_vccnz .LBB1_14
; %bb.4:                                ;   in Loop: Header=BB1_3 Depth=1
	v_sub_u32_e32 v7, 0, v2
	v_max_i32_e32 v7, v2, v7
	v_mul_hi_u32 v8, v7, v14
	v_mul_lo_u32 v9, v8, s70
	v_sub_u32_e32 v7, v7, v9
	v_add_u32_e32 v9, 1, v8
	v_cmp_le_u32_e32 vcc, s70, v7
	v_mul_lo_u32 v4, v15, s18
	v_subrev_u32_e32 v19, s41, v4
	v_cndmask_b32_e32 v8, v8, v9, vcc
	v_subrev_u32_e32 v9, s70, v7
	v_cndmask_b32_e32 v7, v7, v9, vcc
	v_add_u32_e32 v9, 1, v8
	v_cmp_le_u32_e32 vcc, s70, v7
	v_mul_lo_u32 v4, v16, s17
	v_xor_b32_e32 v6, s71, v3
	v_cndmask_b32_e32 v7, v8, v9, vcc
	v_subrev_u32_e32 v20, s40, v4
	v_mul_lo_u32 v4, v17, s16
	v_xor_b32_e32 v7, v7, v6
	v_subrev_u32_e32 v21, s19, v4
	v_mul_lo_u32 v4, s24, v18
	v_sub_u32_e32 v6, v7, v6
	v_ashrrev_i32_e32 v5, 31, v4
	v_mul_lo_u32 v6, s25, v6
	v_lshl_add_u64 v[4:5], v[4:5], 3, s[42:43]
	v_ashrrev_i32_e32 v7, 31, v6
	v_lshl_add_u64 v[4:5], v[6:7], 3, v[4:5]
	v_mul_lo_u32 v6, s26, v21
	v_ashrrev_i32_e32 v7, 31, v6
	v_lshl_add_u64 v[4:5], v[6:7], 3, v[4:5]
	v_mul_lo_u32 v6, s27, v20
	;; [unrolled: 3-line block ×4, first 2 shown]
	v_ashrrev_i32_e32 v5, 31, v4
	s_mov_b32 s72, 0
	v_lshl_add_u64 v[8:9], v[4:5], 3, s[60:61]
	v_mov_b64_e32 v[4:5], 0
	s_branch .LBB1_6
.LBB1_5:                                ;   in Loop: Header=BB1_6 Depth=2
	s_add_i32 s72, s72, 1
	s_cmp_eq_u32 s72, s20
	v_lshl_add_u64 v[6:7], s[52:53], 3, v[6:7]
	s_cbranch_scc1 .LBB1_15
.LBB1_6:                                ;   Parent Loop BB1_3 Depth=1
                                        ; =>  This Loop Header: Depth=2
                                        ;       Child Loop BB1_9 Depth 3
                                        ;         Child Loop BB1_12 Depth 4
	s_andn2_b64 vcc, exec, s[46:47]
	s_cbranch_vccnz .LBB1_5
; %bb.7:                                ;   in Loop: Header=BB1_6 Depth=2
	v_add_u32_e32 v22, s72, v21
	v_cmp_lt_i32_e64 s[0:1], -1, v22
	v_cmp_gt_i32_e64 s[2:3], s9, v22
	s_mov_b32 s73, 0
	s_branch .LBB1_9
.LBB1_8:                                ;   in Loop: Header=BB1_9 Depth=3
	s_add_i32 s73, s73, 1
	s_cmp_eq_u32 s73, s21
	v_lshl_add_u64 v[6:7], s[50:51], 3, v[6:7]
	s_cbranch_scc1 .LBB1_5
.LBB1_9:                                ;   Parent Loop BB1_3 Depth=1
                                        ;     Parent Loop BB1_6 Depth=2
                                        ; =>    This Loop Header: Depth=3
                                        ;         Child Loop BB1_12 Depth 4
	s_andn2_b64 vcc, exec, s[48:49]
	s_cbranch_vccnz .LBB1_8
; %bb.10:                               ;   in Loop: Header=BB1_9 Depth=3
	v_add_u32_e32 v22, s73, v20
	v_cmp_lt_i32_e32 vcc, -1, v22
	s_and_b64 s[62:63], s[0:1], vcc
	v_cmp_gt_i32_e32 vcc, s10, v22
	v_mov_b32_e32 v22, v19
	s_mov_b32 s74, s22
	s_branch .LBB1_12
.LBB1_11:                               ;   in Loop: Header=BB1_12 Depth=4
	s_or_b64 exec, exec, s[4:5]
	s_add_i32 s74, s74, -1
	v_lshl_add_u64 v[8:9], v[8:9], 0, 8
	v_lshl_add_u64 v[6:7], v[6:7], 0, 8
	s_cmp_eq_u32 s74, 0
	v_add_u32_e32 v22, 1, v22
	s_cbranch_scc1 .LBB1_8
.LBB1_12:                               ;   Parent Loop BB1_3 Depth=1
                                        ;     Parent Loop BB1_6 Depth=2
                                        ;       Parent Loop BB1_9 Depth=3
                                        ; =>      This Inner Loop Header: Depth=4
	v_cmp_lt_i32_e64 s[4:5], -1, v22
	s_and_b64 s[4:5], s[62:63], s[4:5]
	s_and_b64 s[4:5], s[4:5], s[2:3]
	s_and_b64 s[76:77], s[4:5], vcc
	v_cmp_gt_i32_e64 s[4:5], s11, v22
	s_and_b64 s[76:77], s[76:77], s[4:5]
	s_and_saveexec_b64 s[4:5], s[76:77]
	s_cbranch_execz .LBB1_11
; %bb.13:                               ;   in Loop: Header=BB1_12 Depth=4
	global_load_dwordx2 v[24:25], v[8:9], off
	global_load_dwordx2 v[26:27], v[6:7], off
	s_waitcnt vmcnt(0)
	v_fmac_f64_e32 v[4:5], v[24:25], v[26:27]
	s_branch .LBB1_11
.LBB1_14:                               ;   in Loop: Header=BB1_3 Depth=1
	v_mov_b64_e32 v[4:5], 0
.LBB1_15:                               ;   in Loop: Header=BB1_3 Depth=1
	s_and_b64 vcc, exec, s[54:55]
	s_cbranch_vccz .LBB1_2
; %bb.16:                               ;   in Loop: Header=BB1_3 Depth=1
	v_lshl_add_u64 v[6:7], v[2:3], 3, s[38:39]
	global_load_dwordx2 v[6:7], v[6:7], off
	s_waitcnt vmcnt(0)
	v_add_f64 v[4:5], v[4:5], v[6:7]
	s_branch .LBB1_2
.LBB1_17:
	s_endpgm
	.section	.rodata,"a",@progbits
	.p2align	6, 0x0
	.amdhsa_kernel _ZN2at6native12_GLOBAL__N_128conv_depthwise3d_cuda_kernelIddLin1ELin1ELin1ELi1ELi1ELi1EEEvN5torch10headeronly6detail27GenericPackedTensorAccessorINS5_14TensorAccessorIN3c108ArrayRefIlEEKT_Lm4ENS4_16DefaultPtrTraitsEiEENS_6detail16IndexBoundsCheckILm5EiEESC_Lm5ESD_iEENS6_INS7_ISA_SB_Lm4ESD_iEESH_SB_Lm5ESD_iEESI_PSC_iiiiiiiii
		.amdhsa_group_segment_fixed_size 0
		.amdhsa_private_segment_fixed_size 0
		.amdhsa_kernarg_size 448
		.amdhsa_user_sgpr_count 2
		.amdhsa_user_sgpr_dispatch_ptr 0
		.amdhsa_user_sgpr_queue_ptr 0
		.amdhsa_user_sgpr_kernarg_segment_ptr 1
		.amdhsa_user_sgpr_dispatch_id 0
		.amdhsa_user_sgpr_kernarg_preload_length 0
		.amdhsa_user_sgpr_kernarg_preload_offset 0
		.amdhsa_user_sgpr_private_segment_size 0
		.amdhsa_uses_dynamic_stack 0
		.amdhsa_enable_private_segment 0
		.amdhsa_system_sgpr_workgroup_id_x 1
		.amdhsa_system_sgpr_workgroup_id_y 0
		.amdhsa_system_sgpr_workgroup_id_z 0
		.amdhsa_system_sgpr_workgroup_info 0
		.amdhsa_system_vgpr_workitem_id 0
		.amdhsa_next_free_vgpr 28
		.amdhsa_next_free_sgpr 78
		.amdhsa_accum_offset 28
		.amdhsa_reserve_vcc 1
		.amdhsa_float_round_mode_32 0
		.amdhsa_float_round_mode_16_64 0
		.amdhsa_float_denorm_mode_32 3
		.amdhsa_float_denorm_mode_16_64 3
		.amdhsa_dx10_clamp 1
		.amdhsa_ieee_mode 1
		.amdhsa_fp16_overflow 0
		.amdhsa_tg_split 0
		.amdhsa_exception_fp_ieee_invalid_op 0
		.amdhsa_exception_fp_denorm_src 0
		.amdhsa_exception_fp_ieee_div_zero 0
		.amdhsa_exception_fp_ieee_overflow 0
		.amdhsa_exception_fp_ieee_underflow 0
		.amdhsa_exception_fp_ieee_inexact 0
		.amdhsa_exception_int_div_zero 0
	.end_amdhsa_kernel
	.section	.text._ZN2at6native12_GLOBAL__N_128conv_depthwise3d_cuda_kernelIddLin1ELin1ELin1ELi1ELi1ELi1EEEvN5torch10headeronly6detail27GenericPackedTensorAccessorINS5_14TensorAccessorIN3c108ArrayRefIlEEKT_Lm4ENS4_16DefaultPtrTraitsEiEENS_6detail16IndexBoundsCheckILm5EiEESC_Lm5ESD_iEENS6_INS7_ISA_SB_Lm4ESD_iEESH_SB_Lm5ESD_iEESI_PSC_iiiiiiiii,"axG",@progbits,_ZN2at6native12_GLOBAL__N_128conv_depthwise3d_cuda_kernelIddLin1ELin1ELin1ELi1ELi1ELi1EEEvN5torch10headeronly6detail27GenericPackedTensorAccessorINS5_14TensorAccessorIN3c108ArrayRefIlEEKT_Lm4ENS4_16DefaultPtrTraitsEiEENS_6detail16IndexBoundsCheckILm5EiEESC_Lm5ESD_iEENS6_INS7_ISA_SB_Lm4ESD_iEESH_SB_Lm5ESD_iEESI_PSC_iiiiiiiii,comdat
.Lfunc_end1:
	.size	_ZN2at6native12_GLOBAL__N_128conv_depthwise3d_cuda_kernelIddLin1ELin1ELin1ELi1ELi1ELi1EEEvN5torch10headeronly6detail27GenericPackedTensorAccessorINS5_14TensorAccessorIN3c108ArrayRefIlEEKT_Lm4ENS4_16DefaultPtrTraitsEiEENS_6detail16IndexBoundsCheckILm5EiEESC_Lm5ESD_iEENS6_INS7_ISA_SB_Lm4ESD_iEESH_SB_Lm5ESD_iEESI_PSC_iiiiiiiii, .Lfunc_end1-_ZN2at6native12_GLOBAL__N_128conv_depthwise3d_cuda_kernelIddLin1ELin1ELin1ELi1ELi1ELi1EEEvN5torch10headeronly6detail27GenericPackedTensorAccessorINS5_14TensorAccessorIN3c108ArrayRefIlEEKT_Lm4ENS4_16DefaultPtrTraitsEiEENS_6detail16IndexBoundsCheckILm5EiEESC_Lm5ESD_iEENS6_INS7_ISA_SB_Lm4ESD_iEESH_SB_Lm5ESD_iEESI_PSC_iiiiiiiii
                                        ; -- End function
	.set _ZN2at6native12_GLOBAL__N_128conv_depthwise3d_cuda_kernelIddLin1ELin1ELin1ELi1ELi1ELi1EEEvN5torch10headeronly6detail27GenericPackedTensorAccessorINS5_14TensorAccessorIN3c108ArrayRefIlEEKT_Lm4ENS4_16DefaultPtrTraitsEiEENS_6detail16IndexBoundsCheckILm5EiEESC_Lm5ESD_iEENS6_INS7_ISA_SB_Lm4ESD_iEESH_SB_Lm5ESD_iEESI_PSC_iiiiiiiii.num_vgpr, 28
	.set _ZN2at6native12_GLOBAL__N_128conv_depthwise3d_cuda_kernelIddLin1ELin1ELin1ELi1ELi1ELi1EEEvN5torch10headeronly6detail27GenericPackedTensorAccessorINS5_14TensorAccessorIN3c108ArrayRefIlEEKT_Lm4ENS4_16DefaultPtrTraitsEiEENS_6detail16IndexBoundsCheckILm5EiEESC_Lm5ESD_iEENS6_INS7_ISA_SB_Lm4ESD_iEESH_SB_Lm5ESD_iEESI_PSC_iiiiiiiii.num_agpr, 0
	.set _ZN2at6native12_GLOBAL__N_128conv_depthwise3d_cuda_kernelIddLin1ELin1ELin1ELi1ELi1ELi1EEEvN5torch10headeronly6detail27GenericPackedTensorAccessorINS5_14TensorAccessorIN3c108ArrayRefIlEEKT_Lm4ENS4_16DefaultPtrTraitsEiEENS_6detail16IndexBoundsCheckILm5EiEESC_Lm5ESD_iEENS6_INS7_ISA_SB_Lm4ESD_iEESH_SB_Lm5ESD_iEESI_PSC_iiiiiiiii.numbered_sgpr, 78
	.set _ZN2at6native12_GLOBAL__N_128conv_depthwise3d_cuda_kernelIddLin1ELin1ELin1ELi1ELi1ELi1EEEvN5torch10headeronly6detail27GenericPackedTensorAccessorINS5_14TensorAccessorIN3c108ArrayRefIlEEKT_Lm4ENS4_16DefaultPtrTraitsEiEENS_6detail16IndexBoundsCheckILm5EiEESC_Lm5ESD_iEENS6_INS7_ISA_SB_Lm4ESD_iEESH_SB_Lm5ESD_iEESI_PSC_iiiiiiiii.num_named_barrier, 0
	.set _ZN2at6native12_GLOBAL__N_128conv_depthwise3d_cuda_kernelIddLin1ELin1ELin1ELi1ELi1ELi1EEEvN5torch10headeronly6detail27GenericPackedTensorAccessorINS5_14TensorAccessorIN3c108ArrayRefIlEEKT_Lm4ENS4_16DefaultPtrTraitsEiEENS_6detail16IndexBoundsCheckILm5EiEESC_Lm5ESD_iEENS6_INS7_ISA_SB_Lm4ESD_iEESH_SB_Lm5ESD_iEESI_PSC_iiiiiiiii.private_seg_size, 0
	.set _ZN2at6native12_GLOBAL__N_128conv_depthwise3d_cuda_kernelIddLin1ELin1ELin1ELi1ELi1ELi1EEEvN5torch10headeronly6detail27GenericPackedTensorAccessorINS5_14TensorAccessorIN3c108ArrayRefIlEEKT_Lm4ENS4_16DefaultPtrTraitsEiEENS_6detail16IndexBoundsCheckILm5EiEESC_Lm5ESD_iEENS6_INS7_ISA_SB_Lm4ESD_iEESH_SB_Lm5ESD_iEESI_PSC_iiiiiiiii.uses_vcc, 1
	.set _ZN2at6native12_GLOBAL__N_128conv_depthwise3d_cuda_kernelIddLin1ELin1ELin1ELi1ELi1ELi1EEEvN5torch10headeronly6detail27GenericPackedTensorAccessorINS5_14TensorAccessorIN3c108ArrayRefIlEEKT_Lm4ENS4_16DefaultPtrTraitsEiEENS_6detail16IndexBoundsCheckILm5EiEESC_Lm5ESD_iEENS6_INS7_ISA_SB_Lm4ESD_iEESH_SB_Lm5ESD_iEESI_PSC_iiiiiiiii.uses_flat_scratch, 0
	.set _ZN2at6native12_GLOBAL__N_128conv_depthwise3d_cuda_kernelIddLin1ELin1ELin1ELi1ELi1ELi1EEEvN5torch10headeronly6detail27GenericPackedTensorAccessorINS5_14TensorAccessorIN3c108ArrayRefIlEEKT_Lm4ENS4_16DefaultPtrTraitsEiEENS_6detail16IndexBoundsCheckILm5EiEESC_Lm5ESD_iEENS6_INS7_ISA_SB_Lm4ESD_iEESH_SB_Lm5ESD_iEESI_PSC_iiiiiiiii.has_dyn_sized_stack, 0
	.set _ZN2at6native12_GLOBAL__N_128conv_depthwise3d_cuda_kernelIddLin1ELin1ELin1ELi1ELi1ELi1EEEvN5torch10headeronly6detail27GenericPackedTensorAccessorINS5_14TensorAccessorIN3c108ArrayRefIlEEKT_Lm4ENS4_16DefaultPtrTraitsEiEENS_6detail16IndexBoundsCheckILm5EiEESC_Lm5ESD_iEENS6_INS7_ISA_SB_Lm4ESD_iEESH_SB_Lm5ESD_iEESI_PSC_iiiiiiiii.has_recursion, 0
	.set _ZN2at6native12_GLOBAL__N_128conv_depthwise3d_cuda_kernelIddLin1ELin1ELin1ELi1ELi1ELi1EEEvN5torch10headeronly6detail27GenericPackedTensorAccessorINS5_14TensorAccessorIN3c108ArrayRefIlEEKT_Lm4ENS4_16DefaultPtrTraitsEiEENS_6detail16IndexBoundsCheckILm5EiEESC_Lm5ESD_iEENS6_INS7_ISA_SB_Lm4ESD_iEESH_SB_Lm5ESD_iEESI_PSC_iiiiiiiii.has_indirect_call, 0
	.section	.AMDGPU.csdata,"",@progbits
; Kernel info:
; codeLenInByte = 1644
; TotalNumSgprs: 84
; NumVgprs: 28
; NumAgprs: 0
; TotalNumVgprs: 28
; ScratchSize: 0
; MemoryBound: 1
; FloatMode: 240
; IeeeMode: 1
; LDSByteSize: 0 bytes/workgroup (compile time only)
; SGPRBlocks: 10
; VGPRBlocks: 3
; NumSGPRsForWavesPerEU: 84
; NumVGPRsForWavesPerEU: 28
; AccumOffset: 28
; Occupancy: 8
; WaveLimiterHint : 0
; COMPUTE_PGM_RSRC2:SCRATCH_EN: 0
; COMPUTE_PGM_RSRC2:USER_SGPR: 2
; COMPUTE_PGM_RSRC2:TRAP_HANDLER: 0
; COMPUTE_PGM_RSRC2:TGID_X_EN: 1
; COMPUTE_PGM_RSRC2:TGID_Y_EN: 0
; COMPUTE_PGM_RSRC2:TGID_Z_EN: 0
; COMPUTE_PGM_RSRC2:TIDIG_COMP_CNT: 0
; COMPUTE_PGM_RSRC3_GFX90A:ACCUM_OFFSET: 6
; COMPUTE_PGM_RSRC3_GFX90A:TG_SPLIT: 0
	.section	.text._ZN2at6native12_GLOBAL__N_128conv_depthwise3d_cuda_kernelIddLin1ELin1ELin1ELin1ELin1ELin1EEEvN5torch10headeronly6detail27GenericPackedTensorAccessorINS5_14TensorAccessorIN3c108ArrayRefIlEEKT_Lm4ENS4_16DefaultPtrTraitsEiEENS_6detail16IndexBoundsCheckILm5EiEESC_Lm5ESD_iEENS6_INS7_ISA_SB_Lm4ESD_iEESH_SB_Lm5ESD_iEESI_PSC_iiiiiiiii,"axG",@progbits,_ZN2at6native12_GLOBAL__N_128conv_depthwise3d_cuda_kernelIddLin1ELin1ELin1ELin1ELin1ELin1EEEvN5torch10headeronly6detail27GenericPackedTensorAccessorINS5_14TensorAccessorIN3c108ArrayRefIlEEKT_Lm4ENS4_16DefaultPtrTraitsEiEENS_6detail16IndexBoundsCheckILm5EiEESC_Lm5ESD_iEENS6_INS7_ISA_SB_Lm4ESD_iEESH_SB_Lm5ESD_iEESI_PSC_iiiiiiiii,comdat
	.globl	_ZN2at6native12_GLOBAL__N_128conv_depthwise3d_cuda_kernelIddLin1ELin1ELin1ELin1ELin1ELin1EEEvN5torch10headeronly6detail27GenericPackedTensorAccessorINS5_14TensorAccessorIN3c108ArrayRefIlEEKT_Lm4ENS4_16DefaultPtrTraitsEiEENS_6detail16IndexBoundsCheckILm5EiEESC_Lm5ESD_iEENS6_INS7_ISA_SB_Lm4ESD_iEESH_SB_Lm5ESD_iEESI_PSC_iiiiiiiii ; -- Begin function _ZN2at6native12_GLOBAL__N_128conv_depthwise3d_cuda_kernelIddLin1ELin1ELin1ELin1ELin1ELin1EEEvN5torch10headeronly6detail27GenericPackedTensorAccessorINS5_14TensorAccessorIN3c108ArrayRefIlEEKT_Lm4ENS4_16DefaultPtrTraitsEiEENS_6detail16IndexBoundsCheckILm5EiEESC_Lm5ESD_iEENS6_INS7_ISA_SB_Lm4ESD_iEESH_SB_Lm5ESD_iEESI_PSC_iiiiiiiii
	.p2align	8
	.type	_ZN2at6native12_GLOBAL__N_128conv_depthwise3d_cuda_kernelIddLin1ELin1ELin1ELin1ELin1ELin1EEEvN5torch10headeronly6detail27GenericPackedTensorAccessorINS5_14TensorAccessorIN3c108ArrayRefIlEEKT_Lm4ENS4_16DefaultPtrTraitsEiEENS_6detail16IndexBoundsCheckILm5EiEESC_Lm5ESD_iEENS6_INS7_ISA_SB_Lm4ESD_iEESH_SB_Lm5ESD_iEESI_PSC_iiiiiiiii,@function
_ZN2at6native12_GLOBAL__N_128conv_depthwise3d_cuda_kernelIddLin1ELin1ELin1ELin1ELin1ELin1EEEvN5torch10headeronly6detail27GenericPackedTensorAccessorINS5_14TensorAccessorIN3c108ArrayRefIlEEKT_Lm4ENS4_16DefaultPtrTraitsEiEENS_6detail16IndexBoundsCheckILm5EiEESC_Lm5ESD_iEENS6_INS7_ISA_SB_Lm4ESD_iEESH_SB_Lm5ESD_iEESI_PSC_iiiiiiiii: ; @_ZN2at6native12_GLOBAL__N_128conv_depthwise3d_cuda_kernelIddLin1ELin1ELin1ELin1ELin1ELin1EEEvN5torch10headeronly6detail27GenericPackedTensorAccessorINS5_14TensorAccessorIN3c108ArrayRefIlEEKT_Lm4ENS4_16DefaultPtrTraitsEiEENS_6detail16IndexBoundsCheckILm5EiEESC_Lm5ESD_iEENS6_INS7_ISA_SB_Lm4ESD_iEESH_SB_Lm5ESD_iEESI_PSC_iiiiiiiii
; %bb.0:
	s_load_dwordx4 s[16:19], s[0:1], 0xc
	s_load_dwordx4 s[20:23], s[0:1], 0x38
	s_load_dwordx2 s[6:7], s[0:1], 0x48
	s_load_dword s4, s[0:1], 0xcc
	v_mov_b32_e32 v3, s2
	s_waitcnt lgkmcnt(0)
	s_abs_i32 s5, s16
	v_cvt_f32_u32_e32 v2, s5
	s_add_u32 s2, s0, 0xc0
	v_mov_b32_e32 v1, 0
	s_mul_i32 s34, s7, s20
	v_rcp_iflag_f32_e32 v2, v2
	s_addc_u32 s3, s1, 0
	s_and_b32 s4, s4, 0xffff
	v_mad_u64_u32 v[0:1], s[8:9], s4, v3, v[0:1]
	v_mul_f32_e32 v2, 0x4f7ffffe, v2
	v_cvt_u32_f32_e32 v2, v2
	s_ashr_i32 s35, s34, 31
	v_cmp_gt_i64_e32 vcc, s[34:35], v[0:1]
	v_readfirstlane_b32 s8, v2
	s_and_saveexec_b64 s[10:11], vcc
	s_cbranch_execz .LBB2_17
; %bb.1:
	s_sub_i32 s9, 0, s5
	s_mul_i32 s9, s9, s8
	s_mul_hi_u32 s9, s8, s9
	s_ashr_i32 s28, s16, 31
	s_abs_i32 s16, s21
	s_add_i32 s8, s8, s9
	s_ashr_i32 s20, s21, 31
	s_mul_hi_u32 s29, s16, s8
	s_load_dwordx2 s[42:43], s[0:1], 0x90
	s_load_dwordx8 s[8:15], s[0:1], 0x98
	s_load_dword s44, s[0:1], 0xb8
	s_load_dwordx4 s[24:27], s[0:1], 0x70
	s_waitcnt lgkmcnt(0)
	s_xor_b32 s27, s20, s28
	s_mul_i32 s28, s29, s5
	s_sub_i32 s28, s16, s28
	s_add_i32 s30, s29, 1
	s_sub_i32 s31, s28, s5
	s_cmp_ge_u32 s28, s5
	s_cselect_b32 s29, s30, s29
	s_cselect_b32 s28, s31, s28
	s_add_i32 s30, s29, 1
	s_cmp_ge_u32 s28, s5
	s_cselect_b32 s5, s30, s29
	s_xor_b32 s5, s5, s27
	s_sub_i32 s5, s5, s27
	s_cmp_gt_i32 s24, 0
	s_cselect_b64 s[48:49], -1, 0
	s_cmp_gt_i32 s25, 0
	s_load_dword s40, s[2:3], 0x0
	s_load_dword s27, s[0:1], 0x7c
	s_load_dwordx2 s[46:47], s[0:1], 0x0
	s_load_dwordx4 s[28:31], s[0:1], 0x1c
	s_cselect_b64 s[50:51], -1, 0
	s_cmp_gt_i32 s26, 0
	s_mul_i32 s2, s19, s15
	s_mul_i32 s3, s26, s44
	s_cselect_b64 s[52:53], -1, 0
	s_sub_i32 s54, s2, s3
	s_mul_i32 s2, s18, s14
	s_mul_i32 s3, s25, s15
	s_sub_i32 s2, s2, s3
	s_mul_i32 s56, s2, s19
	s_ashr_i32 s45, s44, 31
	s_ashr_i32 s55, s54, 31
	;; [unrolled: 1-line block ×3, first 2 shown]
	s_cmp_lg_u64 s[42:43], 0
	s_cselect_b64 s[58:59], -1, 0
	s_abs_i32 s33, s6
	v_cvt_f32_u32_e32 v2, s33
	s_abs_i32 s71, s23
	v_cvt_f32_u32_e32 v3, s71
	s_load_dword s70, s[0:1], 0x2c
	s_load_dwordx2 s[60:61], s[0:1], 0x30
	v_rcp_iflag_f32_e32 v2, v2
	s_load_dwordx2 s[64:65], s[0:1], 0x60
	s_load_dwordx4 s[36:39], s[0:1], 0x50
	v_rcp_iflag_f32_e32 v3, v3
	s_sub_i32 s0, 0, s33
	v_mul_f32_e32 v2, 0x4f7ffffe, v2
	v_cvt_u32_f32_e32 v2, v2
	s_abs_i32 s73, s22
	s_abs_i32 s76, s5
	v_cvt_f32_u32_e32 v5, s76
	v_mul_lo_u32 v4, s0, v2
	v_mul_hi_u32 v4, v2, v4
	v_add_u32_e32 v10, v2, v4
	v_mul_f32_e32 v2, 0x4f7ffffe, v3
	v_cvt_f32_u32_e32 v3, s73
	v_cvt_u32_f32_e32 v2, v2
	s_sub_i32 s0, 0, s71
	s_mov_b32 s41, 0
	v_rcp_iflag_f32_e32 v3, v3
	v_mul_lo_u32 v4, s0, v2
	v_mul_hi_u32 v4, v2, v4
	v_add_u32_e32 v11, v2, v4
	v_mul_f32_e32 v2, 0x4f7ffffe, v3
	v_cvt_u32_f32_e32 v2, v2
	v_cvt_f32_u32_e32 v3, s16
	s_sub_i32 s0, 0, s73
	s_mov_b64 s[62:63], 0
	v_mul_lo_u32 v4, s0, v2
	v_rcp_iflag_f32_e32 v3, v3
	v_mul_hi_u32 v4, v2, v4
	v_add_u32_e32 v12, v2, v4
	v_rcp_iflag_f32_e32 v2, v5
	v_mul_f32_e32 v3, 0x4f7ffffe, v3
	v_cvt_u32_f32_e32 v3, v3
	s_sub_i32 s0, 0, s16
	v_mul_f32_e32 v2, 0x4f7ffffe, v2
	v_cvt_u32_f32_e32 v2, v2
	v_mul_lo_u32 v4, s0, v3
	v_mul_hi_u32 v4, v3, v4
	s_sub_i32 s0, 0, s76
	v_add_u32_e32 v13, v3, v4
	v_mul_lo_u32 v3, s0, v2
	v_mul_hi_u32 v3, v2, v3
	s_waitcnt lgkmcnt(0)
	s_mul_i32 s40, s40, s4
	s_ashr_i32 s72, s6, 31
	s_ashr_i32 s74, s23, 31
	;; [unrolled: 1-line block ×4, first 2 shown]
	v_add_u32_e32 v14, v2, v3
	s_lshl_b64 s[66:67], s[44:45], 3
	s_branch .LBB2_3
.LBB2_2:                                ;   in Loop: Header=BB2_3 Depth=1
	v_mul_lo_u32 v6, v18, s7
	v_ashrrev_i32_e32 v7, 31, v6
	v_mul_lo_u32 v2, s36, v2
	v_lshl_add_u64 v[6:7], v[6:7], 3, s[60:61]
	v_ashrrev_i32_e32 v3, 31, v2
	v_lshl_add_u64 v[2:3], v[2:3], 3, v[6:7]
	v_mul_lo_u32 v6, s37, v17
	v_ashrrev_i32_e32 v7, 31, v6
	v_lshl_add_u64 v[2:3], v[6:7], 3, v[2:3]
	v_mul_lo_u32 v6, s38, v16
	;; [unrolled: 3-line block ×3, first 2 shown]
	v_lshl_add_u64 v[0:1], v[0:1], 0, s[40:41]
	v_ashrrev_i32_e32 v7, 31, v6
	v_cmp_le_i64_e32 vcc, s[34:35], v[0:1]
	v_lshl_add_u64 v[2:3], v[6:7], 3, v[2:3]
	s_or_b64 s[62:63], vcc, s[62:63]
	global_store_dwordx2 v[2:3], v[4:5], off
	s_andn2_b64 exec, exec, s[62:63]
	s_cbranch_execz .LBB2_17
.LBB2_3:                                ; =>This Loop Header: Depth=1
                                        ;     Child Loop BB2_6 Depth 2
                                        ;       Child Loop BB2_9 Depth 3
                                        ;         Child Loop BB2_12 Depth 4
	v_sub_u32_e32 v3, 0, v0
	v_max_i32_e32 v3, v0, v3
	v_mul_hi_u32 v4, v3, v10
	v_mul_lo_u32 v5, v4, s33
	v_sub_u32_e32 v3, v3, v5
	v_add_u32_e32 v5, 1, v4
	v_cmp_le_u32_e32 vcc, s33, v3
	v_ashrrev_i32_e32 v2, 31, v0
	v_xor_b32_e32 v2, s72, v2
	v_cndmask_b32_e32 v4, v4, v5, vcc
	v_subrev_u32_e32 v5, s33, v3
	v_cndmask_b32_e32 v3, v3, v5, vcc
	v_add_u32_e32 v5, 1, v4
	v_cmp_le_u32_e32 vcc, s33, v3
	s_nop 1
	v_cndmask_b32_e32 v3, v4, v5, vcc
	v_xor_b32_e32 v3, v3, v2
	v_sub_u32_e32 v2, v3, v2
	v_sub_u32_e32 v4, 0, v2
	v_max_i32_e32 v4, v2, v4
	v_mul_hi_u32 v5, v4, v11
	v_mul_lo_u32 v6, v5, s71
	v_sub_u32_e32 v4, v4, v6
	v_add_u32_e32 v6, 1, v5
	v_cmp_le_u32_e32 vcc, s71, v4
	v_mul_lo_u32 v3, v2, s6
	v_sub_u32_e32 v15, v0, v3
	v_cndmask_b32_e32 v5, v5, v6, vcc
	v_subrev_u32_e32 v6, s71, v4
	v_cndmask_b32_e32 v4, v4, v6, vcc
	v_ashrrev_i32_e32 v3, 31, v2
	v_add_u32_e32 v6, 1, v5
	v_cmp_le_u32_e32 vcc, s71, v4
	v_xor_b32_e32 v3, s74, v3
	s_nop 0
	v_cndmask_b32_e32 v4, v5, v6, vcc
	v_xor_b32_e32 v4, v4, v3
	v_sub_u32_e32 v3, v4, v3
	v_mul_lo_u32 v4, v3, s23
	v_sub_u32_e32 v16, v2, v4
	v_sub_u32_e32 v4, 0, v3
	v_max_i32_e32 v4, v3, v4
	v_mul_hi_u32 v5, v4, v12
	v_mul_lo_u32 v6, v5, s73
	v_sub_u32_e32 v4, v4, v6
	v_add_u32_e32 v6, 1, v5
	v_cmp_le_u32_e32 vcc, s73, v4
	v_ashrrev_i32_e32 v2, 31, v3
	v_xor_b32_e32 v2, s75, v2
	v_cndmask_b32_e32 v5, v5, v6, vcc
	v_subrev_u32_e32 v6, s73, v4
	v_cndmask_b32_e32 v4, v4, v6, vcc
	v_add_u32_e32 v6, 1, v5
	v_cmp_le_u32_e32 vcc, s73, v4
	s_nop 1
	v_cndmask_b32_e32 v4, v5, v6, vcc
	v_xor_b32_e32 v4, v4, v2
	v_sub_u32_e32 v2, v4, v2
	v_mul_lo_u32 v4, v2, s22
	v_sub_u32_e32 v17, v3, v4
	v_sub_u32_e32 v4, 0, v2
	v_max_i32_e32 v4, v2, v4
	v_mul_hi_u32 v5, v4, v13
	v_mul_lo_u32 v6, v5, s16
	v_sub_u32_e32 v4, v4, v6
	v_add_u32_e32 v6, 1, v5
	v_cmp_le_u32_e32 vcc, s16, v4
	v_ashrrev_i32_e32 v3, 31, v2
	v_xor_b32_e32 v3, s20, v3
	v_cndmask_b32_e32 v5, v5, v6, vcc
	v_subrev_u32_e32 v6, s16, v4
	v_cndmask_b32_e32 v4, v4, v6, vcc
	v_add_u32_e32 v6, 1, v5
	v_cmp_le_u32_e32 vcc, s16, v4
	s_nop 1
	v_cndmask_b32_e32 v4, v5, v6, vcc
	v_xor_b32_e32 v4, v4, v3
	v_sub_u32_e32 v18, v4, v3
	v_mul_lo_u32 v3, v18, s21
	v_sub_u32_e32 v2, v2, v3
	s_andn2_b64 vcc, exec, s[48:49]
	v_ashrrev_i32_e32 v3, 31, v2
	s_cbranch_vccnz .LBB2_14
; %bb.4:                                ;   in Loop: Header=BB2_3 Depth=1
	v_sub_u32_e32 v7, 0, v2
	v_max_i32_e32 v7, v2, v7
	v_mul_hi_u32 v8, v7, v14
	v_mul_lo_u32 v9, v8, s76
	v_sub_u32_e32 v7, v7, v9
	v_add_u32_e32 v9, 1, v8
	v_cmp_le_u32_e32 vcc, s76, v7
	v_mul_lo_u32 v4, v15, s10
	v_subrev_u32_e32 v19, s13, v4
	v_cndmask_b32_e32 v8, v8, v9, vcc
	v_subrev_u32_e32 v9, s76, v7
	v_cndmask_b32_e32 v7, v7, v9, vcc
	v_add_u32_e32 v9, 1, v8
	v_cmp_le_u32_e32 vcc, s76, v7
	v_mul_lo_u32 v4, v16, s9
	v_xor_b32_e32 v6, s77, v3
	v_cndmask_b32_e32 v7, v8, v9, vcc
	v_subrev_u32_e32 v20, s12, v4
	v_mul_lo_u32 v4, v17, s8
	v_xor_b32_e32 v7, v7, v6
	v_subrev_u32_e32 v21, s11, v4
	v_mul_lo_u32 v4, s28, v18
	v_sub_u32_e32 v6, v7, v6
	v_ashrrev_i32_e32 v5, 31, v4
	v_mul_lo_u32 v6, s29, v6
	v_lshl_add_u64 v[4:5], v[4:5], 3, s[46:47]
	v_ashrrev_i32_e32 v7, 31, v6
	v_lshl_add_u64 v[4:5], v[6:7], 3, v[4:5]
	v_mul_lo_u32 v6, s30, v21
	v_ashrrev_i32_e32 v7, 31, v6
	v_lshl_add_u64 v[4:5], v[6:7], 3, v[4:5]
	v_mul_lo_u32 v6, s31, v20
	;; [unrolled: 3-line block ×4, first 2 shown]
	v_ashrrev_i32_e32 v5, 31, v4
	s_mov_b32 s45, 0
	v_lshl_add_u64 v[8:9], v[4:5], 3, s[64:65]
	v_mov_b64_e32 v[4:5], 0
	s_branch .LBB2_6
.LBB2_5:                                ;   in Loop: Header=BB2_6 Depth=2
	s_add_i32 s45, s45, 1
	s_cmp_eq_u32 s45, s24
	v_lshl_add_u64 v[6:7], s[56:57], 3, v[6:7]
	s_cbranch_scc1 .LBB2_15
.LBB2_6:                                ;   Parent Loop BB2_3 Depth=1
                                        ; =>  This Loop Header: Depth=2
                                        ;       Child Loop BB2_9 Depth 3
                                        ;         Child Loop BB2_12 Depth 4
	s_andn2_b64 vcc, exec, s[50:51]
	s_cbranch_vccnz .LBB2_5
; %bb.7:                                ;   in Loop: Header=BB2_6 Depth=2
	s_mul_i32 s0, s45, s14
	v_add_u32_e32 v22, s0, v21
	v_cmp_lt_i32_e64 s[0:1], -1, v22
	v_cmp_gt_i32_e64 s[2:3], s17, v22
	s_mov_b32 s78, 0
	s_branch .LBB2_9
.LBB2_8:                                ;   in Loop: Header=BB2_9 Depth=3
	s_add_i32 s78, s78, 1
	s_cmp_eq_u32 s78, s25
	v_lshl_add_u64 v[6:7], s[54:55], 3, v[6:7]
	s_cbranch_scc1 .LBB2_5
.LBB2_9:                                ;   Parent Loop BB2_3 Depth=1
                                        ;     Parent Loop BB2_6 Depth=2
                                        ; =>    This Loop Header: Depth=3
                                        ;         Child Loop BB2_12 Depth 4
	s_andn2_b64 vcc, exec, s[52:53]
	s_cbranch_vccnz .LBB2_8
; %bb.10:                               ;   in Loop: Header=BB2_9 Depth=3
	s_mul_i32 s4, s78, s15
	v_add_u32_e32 v22, s4, v20
	v_cmp_lt_i32_e32 vcc, -1, v22
	s_and_b64 s[68:69], s[0:1], vcc
	v_cmp_gt_i32_e32 vcc, s18, v22
	v_mov_b32_e32 v22, v19
	s_mov_b32 s79, s26
	s_branch .LBB2_12
.LBB2_11:                               ;   in Loop: Header=BB2_12 Depth=4
	s_or_b64 exec, exec, s[4:5]
	s_add_i32 s79, s79, -1
	v_lshl_add_u64 v[8:9], v[8:9], 0, 8
	v_add_u32_e32 v22, s44, v22
	s_cmp_eq_u32 s79, 0
	v_lshl_add_u64 v[6:7], v[6:7], 0, s[66:67]
	s_cbranch_scc1 .LBB2_8
.LBB2_12:                               ;   Parent Loop BB2_3 Depth=1
                                        ;     Parent Loop BB2_6 Depth=2
                                        ;       Parent Loop BB2_9 Depth=3
                                        ; =>      This Inner Loop Header: Depth=4
	v_cmp_lt_i32_e64 s[4:5], -1, v22
	s_and_b64 s[4:5], s[68:69], s[4:5]
	s_and_b64 s[4:5], s[4:5], s[2:3]
	s_and_b64 s[80:81], s[4:5], vcc
	v_cmp_gt_i32_e64 s[4:5], s19, v22
	s_and_b64 s[80:81], s[80:81], s[4:5]
	s_and_saveexec_b64 s[4:5], s[80:81]
	s_cbranch_execz .LBB2_11
; %bb.13:                               ;   in Loop: Header=BB2_12 Depth=4
	global_load_dwordx2 v[24:25], v[8:9], off
	global_load_dwordx2 v[26:27], v[6:7], off
	s_waitcnt vmcnt(0)
	v_fmac_f64_e32 v[4:5], v[24:25], v[26:27]
	s_branch .LBB2_11
.LBB2_14:                               ;   in Loop: Header=BB2_3 Depth=1
	v_mov_b64_e32 v[4:5], 0
.LBB2_15:                               ;   in Loop: Header=BB2_3 Depth=1
	s_and_b64 vcc, exec, s[58:59]
	s_cbranch_vccz .LBB2_2
; %bb.16:                               ;   in Loop: Header=BB2_3 Depth=1
	v_lshl_add_u64 v[6:7], v[2:3], 3, s[42:43]
	global_load_dwordx2 v[6:7], v[6:7], off
	s_waitcnt vmcnt(0)
	v_add_f64 v[4:5], v[4:5], v[6:7]
	s_branch .LBB2_2
.LBB2_17:
	s_endpgm
	.section	.rodata,"a",@progbits
	.p2align	6, 0x0
	.amdhsa_kernel _ZN2at6native12_GLOBAL__N_128conv_depthwise3d_cuda_kernelIddLin1ELin1ELin1ELin1ELin1ELin1EEEvN5torch10headeronly6detail27GenericPackedTensorAccessorINS5_14TensorAccessorIN3c108ArrayRefIlEEKT_Lm4ENS4_16DefaultPtrTraitsEiEENS_6detail16IndexBoundsCheckILm5EiEESC_Lm5ESD_iEENS6_INS7_ISA_SB_Lm4ESD_iEESH_SB_Lm5ESD_iEESI_PSC_iiiiiiiii
		.amdhsa_group_segment_fixed_size 0
		.amdhsa_private_segment_fixed_size 0
		.amdhsa_kernarg_size 448
		.amdhsa_user_sgpr_count 2
		.amdhsa_user_sgpr_dispatch_ptr 0
		.amdhsa_user_sgpr_queue_ptr 0
		.amdhsa_user_sgpr_kernarg_segment_ptr 1
		.amdhsa_user_sgpr_dispatch_id 0
		.amdhsa_user_sgpr_kernarg_preload_length 0
		.amdhsa_user_sgpr_kernarg_preload_offset 0
		.amdhsa_user_sgpr_private_segment_size 0
		.amdhsa_uses_dynamic_stack 0
		.amdhsa_enable_private_segment 0
		.amdhsa_system_sgpr_workgroup_id_x 1
		.amdhsa_system_sgpr_workgroup_id_y 0
		.amdhsa_system_sgpr_workgroup_id_z 0
		.amdhsa_system_sgpr_workgroup_info 0
		.amdhsa_system_vgpr_workitem_id 0
		.amdhsa_next_free_vgpr 28
		.amdhsa_next_free_sgpr 82
		.amdhsa_accum_offset 28
		.amdhsa_reserve_vcc 1
		.amdhsa_float_round_mode_32 0
		.amdhsa_float_round_mode_16_64 0
		.amdhsa_float_denorm_mode_32 3
		.amdhsa_float_denorm_mode_16_64 3
		.amdhsa_dx10_clamp 1
		.amdhsa_ieee_mode 1
		.amdhsa_fp16_overflow 0
		.amdhsa_tg_split 0
		.amdhsa_exception_fp_ieee_invalid_op 0
		.amdhsa_exception_fp_denorm_src 0
		.amdhsa_exception_fp_ieee_div_zero 0
		.amdhsa_exception_fp_ieee_overflow 0
		.amdhsa_exception_fp_ieee_underflow 0
		.amdhsa_exception_fp_ieee_inexact 0
		.amdhsa_exception_int_div_zero 0
	.end_amdhsa_kernel
	.section	.text._ZN2at6native12_GLOBAL__N_128conv_depthwise3d_cuda_kernelIddLin1ELin1ELin1ELin1ELin1ELin1EEEvN5torch10headeronly6detail27GenericPackedTensorAccessorINS5_14TensorAccessorIN3c108ArrayRefIlEEKT_Lm4ENS4_16DefaultPtrTraitsEiEENS_6detail16IndexBoundsCheckILm5EiEESC_Lm5ESD_iEENS6_INS7_ISA_SB_Lm4ESD_iEESH_SB_Lm5ESD_iEESI_PSC_iiiiiiiii,"axG",@progbits,_ZN2at6native12_GLOBAL__N_128conv_depthwise3d_cuda_kernelIddLin1ELin1ELin1ELin1ELin1ELin1EEEvN5torch10headeronly6detail27GenericPackedTensorAccessorINS5_14TensorAccessorIN3c108ArrayRefIlEEKT_Lm4ENS4_16DefaultPtrTraitsEiEENS_6detail16IndexBoundsCheckILm5EiEESC_Lm5ESD_iEENS6_INS7_ISA_SB_Lm4ESD_iEESH_SB_Lm5ESD_iEESI_PSC_iiiiiiiii,comdat
.Lfunc_end2:
	.size	_ZN2at6native12_GLOBAL__N_128conv_depthwise3d_cuda_kernelIddLin1ELin1ELin1ELin1ELin1ELin1EEEvN5torch10headeronly6detail27GenericPackedTensorAccessorINS5_14TensorAccessorIN3c108ArrayRefIlEEKT_Lm4ENS4_16DefaultPtrTraitsEiEENS_6detail16IndexBoundsCheckILm5EiEESC_Lm5ESD_iEENS6_INS7_ISA_SB_Lm4ESD_iEESH_SB_Lm5ESD_iEESI_PSC_iiiiiiiii, .Lfunc_end2-_ZN2at6native12_GLOBAL__N_128conv_depthwise3d_cuda_kernelIddLin1ELin1ELin1ELin1ELin1ELin1EEEvN5torch10headeronly6detail27GenericPackedTensorAccessorINS5_14TensorAccessorIN3c108ArrayRefIlEEKT_Lm4ENS4_16DefaultPtrTraitsEiEENS_6detail16IndexBoundsCheckILm5EiEESC_Lm5ESD_iEENS6_INS7_ISA_SB_Lm4ESD_iEESH_SB_Lm5ESD_iEESI_PSC_iiiiiiiii
                                        ; -- End function
	.set _ZN2at6native12_GLOBAL__N_128conv_depthwise3d_cuda_kernelIddLin1ELin1ELin1ELin1ELin1ELin1EEEvN5torch10headeronly6detail27GenericPackedTensorAccessorINS5_14TensorAccessorIN3c108ArrayRefIlEEKT_Lm4ENS4_16DefaultPtrTraitsEiEENS_6detail16IndexBoundsCheckILm5EiEESC_Lm5ESD_iEENS6_INS7_ISA_SB_Lm4ESD_iEESH_SB_Lm5ESD_iEESI_PSC_iiiiiiiii.num_vgpr, 28
	.set _ZN2at6native12_GLOBAL__N_128conv_depthwise3d_cuda_kernelIddLin1ELin1ELin1ELin1ELin1ELin1EEEvN5torch10headeronly6detail27GenericPackedTensorAccessorINS5_14TensorAccessorIN3c108ArrayRefIlEEKT_Lm4ENS4_16DefaultPtrTraitsEiEENS_6detail16IndexBoundsCheckILm5EiEESC_Lm5ESD_iEENS6_INS7_ISA_SB_Lm4ESD_iEESH_SB_Lm5ESD_iEESI_PSC_iiiiiiiii.num_agpr, 0
	.set _ZN2at6native12_GLOBAL__N_128conv_depthwise3d_cuda_kernelIddLin1ELin1ELin1ELin1ELin1ELin1EEEvN5torch10headeronly6detail27GenericPackedTensorAccessorINS5_14TensorAccessorIN3c108ArrayRefIlEEKT_Lm4ENS4_16DefaultPtrTraitsEiEENS_6detail16IndexBoundsCheckILm5EiEESC_Lm5ESD_iEENS6_INS7_ISA_SB_Lm4ESD_iEESH_SB_Lm5ESD_iEESI_PSC_iiiiiiiii.numbered_sgpr, 82
	.set _ZN2at6native12_GLOBAL__N_128conv_depthwise3d_cuda_kernelIddLin1ELin1ELin1ELin1ELin1ELin1EEEvN5torch10headeronly6detail27GenericPackedTensorAccessorINS5_14TensorAccessorIN3c108ArrayRefIlEEKT_Lm4ENS4_16DefaultPtrTraitsEiEENS_6detail16IndexBoundsCheckILm5EiEESC_Lm5ESD_iEENS6_INS7_ISA_SB_Lm4ESD_iEESH_SB_Lm5ESD_iEESI_PSC_iiiiiiiii.num_named_barrier, 0
	.set _ZN2at6native12_GLOBAL__N_128conv_depthwise3d_cuda_kernelIddLin1ELin1ELin1ELin1ELin1ELin1EEEvN5torch10headeronly6detail27GenericPackedTensorAccessorINS5_14TensorAccessorIN3c108ArrayRefIlEEKT_Lm4ENS4_16DefaultPtrTraitsEiEENS_6detail16IndexBoundsCheckILm5EiEESC_Lm5ESD_iEENS6_INS7_ISA_SB_Lm4ESD_iEESH_SB_Lm5ESD_iEESI_PSC_iiiiiiiii.private_seg_size, 0
	.set _ZN2at6native12_GLOBAL__N_128conv_depthwise3d_cuda_kernelIddLin1ELin1ELin1ELin1ELin1ELin1EEEvN5torch10headeronly6detail27GenericPackedTensorAccessorINS5_14TensorAccessorIN3c108ArrayRefIlEEKT_Lm4ENS4_16DefaultPtrTraitsEiEENS_6detail16IndexBoundsCheckILm5EiEESC_Lm5ESD_iEENS6_INS7_ISA_SB_Lm4ESD_iEESH_SB_Lm5ESD_iEESI_PSC_iiiiiiiii.uses_vcc, 1
	.set _ZN2at6native12_GLOBAL__N_128conv_depthwise3d_cuda_kernelIddLin1ELin1ELin1ELin1ELin1ELin1EEEvN5torch10headeronly6detail27GenericPackedTensorAccessorINS5_14TensorAccessorIN3c108ArrayRefIlEEKT_Lm4ENS4_16DefaultPtrTraitsEiEENS_6detail16IndexBoundsCheckILm5EiEESC_Lm5ESD_iEENS6_INS7_ISA_SB_Lm4ESD_iEESH_SB_Lm5ESD_iEESI_PSC_iiiiiiiii.uses_flat_scratch, 0
	.set _ZN2at6native12_GLOBAL__N_128conv_depthwise3d_cuda_kernelIddLin1ELin1ELin1ELin1ELin1ELin1EEEvN5torch10headeronly6detail27GenericPackedTensorAccessorINS5_14TensorAccessorIN3c108ArrayRefIlEEKT_Lm4ENS4_16DefaultPtrTraitsEiEENS_6detail16IndexBoundsCheckILm5EiEESC_Lm5ESD_iEENS6_INS7_ISA_SB_Lm4ESD_iEESH_SB_Lm5ESD_iEESI_PSC_iiiiiiiii.has_dyn_sized_stack, 0
	.set _ZN2at6native12_GLOBAL__N_128conv_depthwise3d_cuda_kernelIddLin1ELin1ELin1ELin1ELin1ELin1EEEvN5torch10headeronly6detail27GenericPackedTensorAccessorINS5_14TensorAccessorIN3c108ArrayRefIlEEKT_Lm4ENS4_16DefaultPtrTraitsEiEENS_6detail16IndexBoundsCheckILm5EiEESC_Lm5ESD_iEENS6_INS7_ISA_SB_Lm4ESD_iEESH_SB_Lm5ESD_iEESI_PSC_iiiiiiiii.has_recursion, 0
	.set _ZN2at6native12_GLOBAL__N_128conv_depthwise3d_cuda_kernelIddLin1ELin1ELin1ELin1ELin1ELin1EEEvN5torch10headeronly6detail27GenericPackedTensorAccessorINS5_14TensorAccessorIN3c108ArrayRefIlEEKT_Lm4ENS4_16DefaultPtrTraitsEiEENS_6detail16IndexBoundsCheckILm5EiEESC_Lm5ESD_iEENS6_INS7_ISA_SB_Lm4ESD_iEESH_SB_Lm5ESD_iEESI_PSC_iiiiiiiii.has_indirect_call, 0
	.section	.AMDGPU.csdata,"",@progbits
; Kernel info:
; codeLenInByte = 1676
; TotalNumSgprs: 88
; NumVgprs: 28
; NumAgprs: 0
; TotalNumVgprs: 28
; ScratchSize: 0
; MemoryBound: 1
; FloatMode: 240
; IeeeMode: 1
; LDSByteSize: 0 bytes/workgroup (compile time only)
; SGPRBlocks: 10
; VGPRBlocks: 3
; NumSGPRsForWavesPerEU: 88
; NumVGPRsForWavesPerEU: 28
; AccumOffset: 28
; Occupancy: 8
; WaveLimiterHint : 0
; COMPUTE_PGM_RSRC2:SCRATCH_EN: 0
; COMPUTE_PGM_RSRC2:USER_SGPR: 2
; COMPUTE_PGM_RSRC2:TRAP_HANDLER: 0
; COMPUTE_PGM_RSRC2:TGID_X_EN: 1
; COMPUTE_PGM_RSRC2:TGID_Y_EN: 0
; COMPUTE_PGM_RSRC2:TGID_Z_EN: 0
; COMPUTE_PGM_RSRC2:TIDIG_COMP_CNT: 0
; COMPUTE_PGM_RSRC3_GFX90A:ACCUM_OFFSET: 6
; COMPUTE_PGM_RSRC3_GFX90A:TG_SPLIT: 0
	.section	.text._ZN2at6native12_GLOBAL__N_128conv_depthwise3d_cuda_kernelIffLi3ELi3ELi3ELi1ELi1ELi1EEEvN5torch10headeronly6detail27GenericPackedTensorAccessorINS5_14TensorAccessorIN3c108ArrayRefIlEEKT_Lm4ENS4_16DefaultPtrTraitsEiEENS_6detail16IndexBoundsCheckILm5EiEESC_Lm5ESD_iEENS6_INS7_ISA_SB_Lm4ESD_iEESH_SB_Lm5ESD_iEESI_PSC_iiiiiiiii,"axG",@progbits,_ZN2at6native12_GLOBAL__N_128conv_depthwise3d_cuda_kernelIffLi3ELi3ELi3ELi1ELi1ELi1EEEvN5torch10headeronly6detail27GenericPackedTensorAccessorINS5_14TensorAccessorIN3c108ArrayRefIlEEKT_Lm4ENS4_16DefaultPtrTraitsEiEENS_6detail16IndexBoundsCheckILm5EiEESC_Lm5ESD_iEENS6_INS7_ISA_SB_Lm4ESD_iEESH_SB_Lm5ESD_iEESI_PSC_iiiiiiiii,comdat
	.globl	_ZN2at6native12_GLOBAL__N_128conv_depthwise3d_cuda_kernelIffLi3ELi3ELi3ELi1ELi1ELi1EEEvN5torch10headeronly6detail27GenericPackedTensorAccessorINS5_14TensorAccessorIN3c108ArrayRefIlEEKT_Lm4ENS4_16DefaultPtrTraitsEiEENS_6detail16IndexBoundsCheckILm5EiEESC_Lm5ESD_iEENS6_INS7_ISA_SB_Lm4ESD_iEESH_SB_Lm5ESD_iEESI_PSC_iiiiiiiii ; -- Begin function _ZN2at6native12_GLOBAL__N_128conv_depthwise3d_cuda_kernelIffLi3ELi3ELi3ELi1ELi1ELi1EEEvN5torch10headeronly6detail27GenericPackedTensorAccessorINS5_14TensorAccessorIN3c108ArrayRefIlEEKT_Lm4ENS4_16DefaultPtrTraitsEiEENS_6detail16IndexBoundsCheckILm5EiEESC_Lm5ESD_iEENS6_INS7_ISA_SB_Lm4ESD_iEESH_SB_Lm5ESD_iEESI_PSC_iiiiiiiii
	.p2align	8
	.type	_ZN2at6native12_GLOBAL__N_128conv_depthwise3d_cuda_kernelIffLi3ELi3ELi3ELi1ELi1ELi1EEEvN5torch10headeronly6detail27GenericPackedTensorAccessorINS5_14TensorAccessorIN3c108ArrayRefIlEEKT_Lm4ENS4_16DefaultPtrTraitsEiEENS_6detail16IndexBoundsCheckILm5EiEESC_Lm5ESD_iEENS6_INS7_ISA_SB_Lm4ESD_iEESH_SB_Lm5ESD_iEESI_PSC_iiiiiiiii,@function
_ZN2at6native12_GLOBAL__N_128conv_depthwise3d_cuda_kernelIffLi3ELi3ELi3ELi1ELi1ELi1EEEvN5torch10headeronly6detail27GenericPackedTensorAccessorINS5_14TensorAccessorIN3c108ArrayRefIlEEKT_Lm4ENS4_16DefaultPtrTraitsEiEENS_6detail16IndexBoundsCheckILm5EiEESC_Lm5ESD_iEENS6_INS7_ISA_SB_Lm4ESD_iEESH_SB_Lm5ESD_iEESI_PSC_iiiiiiiii: ; @_ZN2at6native12_GLOBAL__N_128conv_depthwise3d_cuda_kernelIffLi3ELi3ELi3ELi1ELi1ELi1EEEvN5torch10headeronly6detail27GenericPackedTensorAccessorINS5_14TensorAccessorIN3c108ArrayRefIlEEKT_Lm4ENS4_16DefaultPtrTraitsEiEENS_6detail16IndexBoundsCheckILm5EiEESC_Lm5ESD_iEENS6_INS7_ISA_SB_Lm4ESD_iEESH_SB_Lm5ESD_iEESI_PSC_iiiiiiiii
; %bb.0:
	s_load_dwordx4 s[28:31], s[0:1], 0xc
	s_load_dwordx4 s[36:39], s[0:1], 0x38
	s_load_dwordx2 s[26:27], s[0:1], 0x48
	s_load_dword s3, s[0:1], 0xcc
	v_mov_b32_e32 v1, 0
	s_waitcnt lgkmcnt(0)
	s_abs_i32 s6, s28
	v_cvt_f32_u32_e32 v2, s6
	s_add_u32 s4, s0, 0xc0
	v_mov_b32_e32 v3, s2
	s_mul_i32 s34, s27, s36
	v_rcp_iflag_f32_e32 v2, v2
	s_addc_u32 s5, s1, 0
	s_and_b32 s3, s3, 0xffff
	s_ashr_i32 s35, s34, 31
	v_mul_f32_e32 v2, 0x4f7ffffe, v2
	v_cvt_u32_f32_e32 v4, v2
	v_mad_u64_u32 v[2:3], s[8:9], s3, v3, v[0:1]
	v_cmp_gt_i64_e32 vcc, s[34:35], v[2:3]
	v_readfirstlane_b32 s7, v4
	s_and_saveexec_b64 s[8:9], vcc
	s_cbranch_execz .LBB3_59
; %bb.1:
	s_sub_i32 s9, 0, s6
	s_mul_i32 s9, s9, s7
	s_mul_hi_u32 s9, s7, s9
	s_ashr_i32 s8, s28, 31
	s_abs_i32 s28, s37
	s_add_i32 s7, s7, s9
	s_ashr_i32 s33, s37, 31
	s_mul_hi_u32 s7, s28, s7
	s_mul_hi_u32 s55, s3, s2
	s_mul_i32 s54, s3, s2
	s_xor_b32 s2, s33, s8
	s_mul_i32 s8, s7, s6
	s_sub_i32 s8, s28, s8
	s_add_i32 s9, s7, 1
	s_sub_i32 s10, s8, s6
	s_cmp_ge_u32 s8, s6
	s_cselect_b32 s7, s9, s7
	s_cselect_b32 s8, s10, s8
	s_add_i32 s9, s7, 1
	s_cmp_ge_u32 s8, s6
	s_cselect_b32 s6, s9, s7
	s_xor_b32 s6, s6, s2
	s_load_dwordx4 s[40:43], s[0:1], 0x98
	s_load_dwordx2 s[56:57], s[0:1], 0xa8
	s_sub_i32 s2, s6, s2
	s_load_dword s6, s[4:5], 0x0
	s_load_dwordx2 s[58:59], s[0:1], 0x90
	s_load_dword s36, s[0:1], 0x7c
	s_load_dwordx2 s[60:61], s[0:1], 0x0
	s_load_dwordx4 s[44:47], s[0:1], 0x1c
	s_add_i32 s4, s30, -3
	s_mul_i32 s64, s31, s4
	s_ashr_i32 s63, s31, 31
	s_ashr_i32 s65, s64, 31
	s_waitcnt lgkmcnt(0)
	s_cmp_lg_u64 s[58:59], 0
	s_cselect_b64 s[66:67], -1, 0
	s_abs_i32 s78, s26
	v_cvt_f32_u32_e32 v2, s78
	s_abs_i32 s80, s39
	v_cvt_f32_u32_e32 v3, s80
	s_load_dword s79, s[0:1], 0x2c
	s_load_dwordx2 s[68:69], s[0:1], 0x30
	v_rcp_iflag_f32_e32 v2, v2
	s_load_dwordx2 s[72:73], s[0:1], 0x60
	s_load_dwordx4 s[48:51], s[0:1], 0x50
	v_rcp_iflag_f32_e32 v3, v3
	s_sub_i32 s0, 0, s78
	v_mul_f32_e32 v2, 0x4f7ffffe, v2
	v_cvt_u32_f32_e32 v2, v2
	s_abs_i32 s82, s38
	s_abs_i32 s85, s2
	v_cvt_f32_u32_e32 v5, s85
	v_mul_lo_u32 v4, s0, v2
	v_mul_hi_u32 v4, v2, v4
	v_add_u32_e32 v8, v2, v4
	v_mul_f32_e32 v2, 0x4f7ffffe, v3
	v_cvt_f32_u32_e32 v3, s82
	v_cvt_u32_f32_e32 v2, v2
	s_sub_i32 s0, 0, s80
	s_mov_b32 s53, 0
	v_rcp_iflag_f32_e32 v3, v3
	v_mul_lo_u32 v4, s0, v2
	v_mul_hi_u32 v4, v2, v4
	v_add_u32_e32 v9, v2, v4
	v_mul_f32_e32 v2, 0x4f7ffffe, v3
	v_cvt_u32_f32_e32 v2, v2
	v_cvt_f32_u32_e32 v3, s28
	s_sub_i32 s0, 0, s82
	s_mov_b32 s62, s31
	v_mul_lo_u32 v4, s0, v2
	v_rcp_iflag_f32_e32 v3, v3
	v_mul_hi_u32 v4, v2, v4
	v_add_u32_e32 v10, v2, v4
	v_rcp_iflag_f32_e32 v2, v5
	v_mul_f32_e32 v3, 0x4f7ffffe, v3
	v_cvt_u32_f32_e32 v3, v3
	s_sub_i32 s0, 0, s28
	v_mul_f32_e32 v2, 0x4f7ffffe, v2
	v_cvt_u32_f32_e32 v2, v2
	v_mul_lo_u32 v4, s0, v3
	v_mul_hi_u32 v4, v3, v4
	s_sub_i32 s0, 0, s85
	v_add_u32_e32 v11, v3, v4
	v_mul_lo_u32 v3, s0, v2
	v_mul_hi_u32 v3, v2, v3
	s_mov_b64 s[70:71], 0
	s_mul_i32 s52, s6, s3
	s_ashr_i32 s81, s26, 31
	s_ashr_i32 s83, s39, 31
	;; [unrolled: 1-line block ×4, first 2 shown]
	v_add_u32_e32 v12, v2, v3
	s_branch .LBB3_3
.LBB3_2:                                ;   in Loop: Header=BB3_3 Depth=1
	v_mul_lo_u32 v4, v16, s27
	v_ashrrev_i32_e32 v5, 31, v4
	v_mul_lo_u32 v2, s48, v2
	v_lshl_add_u64 v[4:5], v[4:5], 2, s[68:69]
	v_ashrrev_i32_e32 v3, 31, v2
	v_lshl_add_u64 v[2:3], v[2:3], 2, v[4:5]
	v_mul_lo_u32 v4, s49, v15
	v_ashrrev_i32_e32 v5, 31, v4
	v_lshl_add_u64 v[2:3], v[4:5], 2, v[2:3]
	v_mul_lo_u32 v4, s50, v14
	;; [unrolled: 3-line block ×3, first 2 shown]
	v_ashrrev_i32_e32 v5, 31, v4
	v_lshl_add_u64 v[0:1], v[0:1], 0, s[52:53]
	v_lshl_add_u64 v[2:3], v[4:5], 2, v[2:3]
	;; [unrolled: 1-line block ×3, first 2 shown]
	v_cmp_le_i64_e32 vcc, s[34:35], v[4:5]
	s_or_b64 s[70:71], vcc, s[70:71]
	global_store_dword v[2:3], v17, off
	s_andn2_b64 exec, exec, s[70:71]
	s_cbranch_execz .LBB3_59
.LBB3_3:                                ; =>This Inner Loop Header: Depth=1
	v_add_u32_e32 v2, s54, v0
	v_sub_u32_e32 v4, 0, v2
	v_max_i32_e32 v4, v2, v4
	v_mul_hi_u32 v5, v4, v8
	v_mul_lo_u32 v6, v5, s78
	v_sub_u32_e32 v4, v4, v6
	v_add_u32_e32 v6, 1, v5
	v_cmp_le_u32_e32 vcc, s78, v4
	v_ashrrev_i32_e32 v3, 31, v2
	v_xor_b32_e32 v3, s81, v3
	v_cndmask_b32_e32 v5, v5, v6, vcc
	v_subrev_u32_e32 v6, s78, v4
	v_cndmask_b32_e32 v4, v4, v6, vcc
	v_add_u32_e32 v6, 1, v5
	v_cmp_le_u32_e32 vcc, s78, v4
	s_nop 1
	v_cndmask_b32_e32 v4, v5, v6, vcc
	v_xor_b32_e32 v4, v4, v3
	v_sub_u32_e32 v3, v4, v3
	v_mul_lo_u32 v4, v3, s26
	v_sub_u32_e32 v13, v2, v4
	v_sub_u32_e32 v4, 0, v3
	v_max_i32_e32 v4, v3, v4
	v_mul_hi_u32 v5, v4, v9
	v_mul_lo_u32 v6, v5, s80
	v_sub_u32_e32 v4, v4, v6
	v_add_u32_e32 v6, 1, v5
	v_cmp_le_u32_e32 vcc, s80, v4
	v_ashrrev_i32_e32 v2, 31, v3
	v_xor_b32_e32 v2, s83, v2
	v_cndmask_b32_e32 v5, v5, v6, vcc
	v_subrev_u32_e32 v6, s80, v4
	v_cndmask_b32_e32 v4, v4, v6, vcc
	v_add_u32_e32 v6, 1, v5
	v_cmp_le_u32_e32 vcc, s80, v4
	s_nop 1
	v_cndmask_b32_e32 v4, v5, v6, vcc
	v_xor_b32_e32 v4, v4, v2
	v_sub_u32_e32 v2, v4, v2
	v_mul_lo_u32 v4, v2, s39
	v_sub_u32_e32 v14, v3, v4
	;; [unrolled: 20-line block ×4, first 2 shown]
	v_sub_u32_e32 v5, 0, v2
	v_max_i32_e32 v5, v2, v5
	v_mul_hi_u32 v6, v5, v12
	v_mul_lo_u32 v7, v6, s85
	v_sub_u32_e32 v5, v5, v7
	v_add_u32_e32 v7, 1, v6
	v_cmp_le_u32_e32 vcc, s85, v5
	v_ashrrev_i32_e32 v3, 31, v2
	v_xor_b32_e32 v4, s86, v3
	v_cndmask_b32_e32 v6, v6, v7, vcc
	v_subrev_u32_e32 v7, s85, v5
	v_cndmask_b32_e32 v5, v5, v7, vcc
	v_add_u32_e32 v7, 1, v6
	v_cmp_le_u32_e32 vcc, s85, v5
	s_nop 1
	v_cndmask_b32_e32 v5, v6, v7, vcc
	v_xor_b32_e32 v5, v5, v4
	v_sub_u32_e32 v17, v5, v4
	v_mul_lo_u32 v4, v13, s42
	v_subrev_u32_e32 v20, s57, v4
	v_mul_lo_u32 v4, v14, s41
	v_mul_lo_u32 v6, s44, v16
	v_subrev_u32_e32 v19, s56, v4
	v_mul_lo_u32 v4, v15, s40
	v_ashrrev_i32_e32 v7, 31, v6
	v_mul_lo_u32 v22, s45, v17
	v_subrev_u32_e32 v18, s43, v4
	v_lshl_add_u64 v[6:7], v[6:7], 2, s[60:61]
	v_ashrrev_i32_e32 v23, 31, v22
	v_lshl_add_u64 v[6:7], v[22:23], 2, v[6:7]
	v_mul_lo_u32 v22, s46, v18
	v_ashrrev_i32_e32 v23, 31, v22
	v_or_b32_e32 v17, v18, v19
	v_lshl_add_u64 v[6:7], v[22:23], 2, v[6:7]
	v_mul_lo_u32 v22, s47, v19
	v_cmp_lt_i32_e64 s[8:9], -1, v17
	v_or_b32_e32 v17, v17, v20
	v_ashrrev_i32_e32 v23, 31, v22
	v_cmp_gt_i32_e64 s[22:23], s29, v18
	v_cmp_lt_i32_e64 s[0:1], -1, v17
	v_mul_lo_u32 v4, s36, v2
	v_lshl_add_u64 v[6:7], v[22:23], 2, v[6:7]
	s_waitcnt lgkmcnt(0)
	v_mul_lo_u32 v22, s79, v20
	v_cmp_gt_i32_e64 s[10:11], s30, v19
	s_and_b64 s[0:1], s[0:1], s[22:23]
	v_ashrrev_i32_e32 v5, 31, v4
	v_ashrrev_i32_e32 v23, 31, v22
	s_and_b64 s[2:3], s[0:1], s[10:11]
	v_cmp_gt_i32_e64 s[0:1], s31, v20
	v_lshl_add_u64 v[4:5], v[4:5], 2, s[72:73]
	v_lshl_add_u64 v[6:7], v[22:23], 2, v[6:7]
	v_cmp_lt_i32_e64 s[14:15], -1, v18
	v_cmp_lt_i32_e64 s[16:17], -1, v19
	v_cmp_lt_i32_e32 vcc, -1, v20
	s_and_b64 s[4:5], s[2:3], s[0:1]
	v_mov_b32_e32 v17, 0
	s_and_saveexec_b64 s[2:3], s[4:5]
	s_cbranch_execz .LBB3_5
; %bb.4:                                ;   in Loop: Header=BB3_3 Depth=1
	global_load_dword v17, v[4:5], off
	global_load_dword v21, v[6:7], off
	s_waitcnt vmcnt(0)
	v_fma_f32 v17, v17, v21, 0
.LBB3_5:                                ;   in Loop: Header=BB3_3 Depth=1
	s_or_b64 exec, exec, s[2:3]
	v_cmp_lt_i32_e64 s[2:3], -2, v20
	s_and_b64 s[4:5], s[8:9], s[2:3]
	v_add_u32_e32 v21, 1, v20
	s_and_b64 s[4:5], s[4:5], s[22:23]
	s_and_b64 s[6:7], s[4:5], s[10:11]
	v_cmp_gt_i32_e64 s[4:5], s31, v21
	s_and_b64 s[12:13], s[6:7], s[4:5]
	s_and_saveexec_b64 s[6:7], s[12:13]
	s_cbranch_execz .LBB3_7
; %bb.6:                                ;   in Loop: Header=BB3_3 Depth=1
	global_load_dword v21, v[4:5], off offset:4
	global_load_dword v22, v[6:7], off offset:4
	s_waitcnt vmcnt(0)
	v_fmac_f32_e32 v17, v21, v22
.LBB3_7:                                ;   in Loop: Header=BB3_3 Depth=1
	s_or_b64 exec, exec, s[6:7]
	v_cmp_lt_i32_e64 s[6:7], -3, v20
	s_and_b64 s[8:9], s[8:9], s[6:7]
	v_add_u32_e32 v21, 2, v20
	s_and_b64 s[8:9], s[8:9], s[22:23]
	s_and_b64 s[12:13], s[8:9], s[10:11]
	v_cmp_gt_i32_e64 s[8:9], s31, v21
	s_and_b64 s[18:19], s[12:13], s[8:9]
	s_and_saveexec_b64 s[12:13], s[18:19]
	s_cbranch_execz .LBB3_9
; %bb.8:                                ;   in Loop: Header=BB3_3 Depth=1
	global_load_dword v20, v[4:5], off offset:8
	global_load_dword v21, v[6:7], off offset:8
	s_waitcnt vmcnt(0)
	v_fmac_f32_e32 v17, v20, v21
.LBB3_9:                                ;   in Loop: Header=BB3_3 Depth=1
	s_or_b64 exec, exec, s[12:13]
	v_cmp_lt_i32_e64 s[18:19], -2, v19
	s_and_b64 s[20:21], s[14:15], s[18:19]
	v_add_u32_e32 v20, 1, v19
	s_and_b64 s[24:25], s[20:21], vcc
	v_cmp_gt_i32_e64 s[12:13], s30, v20
	s_and_b64 s[24:25], s[24:25], s[22:23]
	s_and_b64 s[24:25], s[24:25], s[12:13]
	v_lshl_add_u64 v[6:7], s[62:63], 2, v[6:7]
	s_and_b64 s[74:75], s[24:25], s[0:1]
	s_and_saveexec_b64 s[24:25], s[74:75]
	s_cbranch_execz .LBB3_11
; %bb.10:                               ;   in Loop: Header=BB3_3 Depth=1
	global_load_dword v20, v[4:5], off offset:12
	global_load_dword v21, v[6:7], off
	s_waitcnt vmcnt(0)
	v_fmac_f32_e32 v17, v20, v21
.LBB3_11:                               ;   in Loop: Header=BB3_3 Depth=1
	s_or_b64 exec, exec, s[24:25]
	s_and_b64 s[24:25], s[20:21], s[2:3]
	s_and_b64 s[24:25], s[24:25], s[22:23]
	;; [unrolled: 1-line block ×4, first 2 shown]
	s_and_saveexec_b64 s[24:25], s[74:75]
	s_cbranch_execz .LBB3_13
; %bb.12:                               ;   in Loop: Header=BB3_3 Depth=1
	global_load_dword v20, v[4:5], off offset:16
	global_load_dword v21, v[6:7], off offset:4
	s_waitcnt vmcnt(0)
	v_fmac_f32_e32 v17, v20, v21
.LBB3_13:                               ;   in Loop: Header=BB3_3 Depth=1
	s_or_b64 exec, exec, s[24:25]
	s_and_b64 s[20:21], s[20:21], s[6:7]
	s_and_b64 s[20:21], s[20:21], s[22:23]
	;; [unrolled: 1-line block ×4, first 2 shown]
	s_and_saveexec_b64 s[20:21], s[24:25]
	s_cbranch_execz .LBB3_15
; %bb.14:                               ;   in Loop: Header=BB3_3 Depth=1
	global_load_dword v20, v[4:5], off offset:20
	global_load_dword v21, v[6:7], off offset:8
	s_waitcnt vmcnt(0)
	v_fmac_f32_e32 v17, v20, v21
.LBB3_15:                               ;   in Loop: Header=BB3_3 Depth=1
	s_or_b64 exec, exec, s[20:21]
	v_cmp_lt_i32_e64 s[20:21], -3, v19
	s_and_b64 s[24:25], s[14:15], s[20:21]
	v_add_u32_e32 v20, 2, v19
	s_and_b64 s[74:75], s[24:25], vcc
	v_cmp_gt_i32_e64 s[14:15], s30, v20
	s_and_b64 s[74:75], s[74:75], s[22:23]
	s_and_b64 s[74:75], s[74:75], s[14:15]
	v_lshl_add_u64 v[6:7], s[62:63], 2, v[6:7]
	s_and_b64 s[76:77], s[74:75], s[0:1]
	s_and_saveexec_b64 s[74:75], s[76:77]
	s_cbranch_execz .LBB3_17
; %bb.16:                               ;   in Loop: Header=BB3_3 Depth=1
	global_load_dword v19, v[4:5], off offset:24
	global_load_dword v20, v[6:7], off
	s_waitcnt vmcnt(0)
	v_fmac_f32_e32 v17, v19, v20
.LBB3_17:                               ;   in Loop: Header=BB3_3 Depth=1
	s_or_b64 exec, exec, s[74:75]
	s_and_b64 s[74:75], s[24:25], s[2:3]
	s_and_b64 s[74:75], s[74:75], s[22:23]
	s_and_b64 s[74:75], s[74:75], s[14:15]
	s_and_b64 s[76:77], s[74:75], s[4:5]
	s_and_saveexec_b64 s[74:75], s[76:77]
	s_cbranch_execz .LBB3_19
; %bb.18:                               ;   in Loop: Header=BB3_3 Depth=1
	global_load_dword v19, v[4:5], off offset:28
	global_load_dword v20, v[6:7], off offset:4
	s_waitcnt vmcnt(0)
	v_fmac_f32_e32 v17, v19, v20
.LBB3_19:                               ;   in Loop: Header=BB3_3 Depth=1
	s_or_b64 exec, exec, s[74:75]
	s_and_b64 s[24:25], s[24:25], s[6:7]
	s_and_b64 s[22:23], s[24:25], s[22:23]
	;; [unrolled: 1-line block ×4, first 2 shown]
	s_and_saveexec_b64 s[22:23], s[24:25]
	s_cbranch_execz .LBB3_21
; %bb.20:                               ;   in Loop: Header=BB3_3 Depth=1
	global_load_dword v19, v[4:5], off offset:32
	global_load_dword v20, v[6:7], off offset:8
	s_waitcnt vmcnt(0)
	v_fmac_f32_e32 v17, v19, v20
.LBB3_21:                               ;   in Loop: Header=BB3_3 Depth=1
	s_or_b64 exec, exec, s[22:23]
	v_cmp_lt_i32_e64 s[24:25], -2, v18
	v_add_u32_e32 v19, 1, v18
	s_and_b64 s[74:75], s[24:25], s[16:17]
	v_cmp_gt_i32_e64 s[22:23], s29, v19
	s_and_b64 s[76:77], s[74:75], vcc
	s_and_b64 s[76:77], s[76:77], s[22:23]
	v_lshl_add_u64 v[6:7], s[62:63], 2, v[6:7]
	s_and_b64 s[76:77], s[76:77], s[10:11]
	v_lshl_add_u64 v[6:7], s[64:65], 2, v[6:7]
	s_and_b64 s[88:89], s[76:77], s[0:1]
	s_and_saveexec_b64 s[76:77], s[88:89]
	s_cbranch_execz .LBB3_23
; %bb.22:                               ;   in Loop: Header=BB3_3 Depth=1
	global_load_dword v19, v[4:5], off offset:36
	global_load_dword v20, v[6:7], off
	s_waitcnt vmcnt(0)
	v_fmac_f32_e32 v17, v19, v20
.LBB3_23:                               ;   in Loop: Header=BB3_3 Depth=1
	s_or_b64 exec, exec, s[76:77]
	s_and_b64 s[76:77], s[74:75], s[2:3]
	s_and_b64 s[76:77], s[76:77], s[22:23]
	;; [unrolled: 1-line block ×4, first 2 shown]
	s_and_saveexec_b64 s[76:77], s[88:89]
	s_cbranch_execz .LBB3_25
; %bb.24:                               ;   in Loop: Header=BB3_3 Depth=1
	global_load_dword v19, v[4:5], off offset:40
	global_load_dword v20, v[6:7], off offset:4
	s_waitcnt vmcnt(0)
	v_fmac_f32_e32 v17, v19, v20
.LBB3_25:                               ;   in Loop: Header=BB3_3 Depth=1
	s_or_b64 exec, exec, s[76:77]
	s_and_b64 s[74:75], s[74:75], s[6:7]
	s_and_b64 s[74:75], s[74:75], s[22:23]
	;; [unrolled: 1-line block ×4, first 2 shown]
	s_and_saveexec_b64 s[74:75], s[76:77]
	s_cbranch_execz .LBB3_27
; %bb.26:                               ;   in Loop: Header=BB3_3 Depth=1
	global_load_dword v19, v[4:5], off offset:44
	global_load_dword v20, v[6:7], off offset:8
	s_waitcnt vmcnt(0)
	v_fmac_f32_e32 v17, v19, v20
.LBB3_27:                               ;   in Loop: Header=BB3_3 Depth=1
	s_or_b64 exec, exec, s[74:75]
	s_and_b64 s[74:75], s[24:25], s[18:19]
	s_and_b64 s[76:77], s[74:75], vcc
	s_and_b64 s[76:77], s[76:77], s[22:23]
	s_and_b64 s[76:77], s[76:77], s[12:13]
	v_lshl_add_u64 v[6:7], s[62:63], 2, v[6:7]
	s_and_b64 s[88:89], s[76:77], s[0:1]
	s_and_saveexec_b64 s[76:77], s[88:89]
	s_cbranch_execz .LBB3_29
; %bb.28:                               ;   in Loop: Header=BB3_3 Depth=1
	global_load_dword v19, v[4:5], off offset:48
	global_load_dword v20, v[6:7], off
	s_waitcnt vmcnt(0)
	v_fmac_f32_e32 v17, v19, v20
.LBB3_29:                               ;   in Loop: Header=BB3_3 Depth=1
	s_or_b64 exec, exec, s[76:77]
	s_and_b64 s[76:77], s[74:75], s[2:3]
	s_and_b64 s[76:77], s[76:77], s[22:23]
	;; [unrolled: 1-line block ×4, first 2 shown]
	s_and_saveexec_b64 s[76:77], s[88:89]
	s_cbranch_execz .LBB3_31
; %bb.30:                               ;   in Loop: Header=BB3_3 Depth=1
	global_load_dword v19, v[4:5], off offset:52
	global_load_dword v20, v[6:7], off offset:4
	s_waitcnt vmcnt(0)
	v_fmac_f32_e32 v17, v19, v20
.LBB3_31:                               ;   in Loop: Header=BB3_3 Depth=1
	s_or_b64 exec, exec, s[76:77]
	s_and_b64 s[74:75], s[74:75], s[6:7]
	s_and_b64 s[74:75], s[74:75], s[22:23]
	s_and_b64 s[74:75], s[74:75], s[12:13]
	s_and_b64 s[76:77], s[74:75], s[8:9]
	s_and_saveexec_b64 s[74:75], s[76:77]
	s_cbranch_execz .LBB3_33
; %bb.32:                               ;   in Loop: Header=BB3_3 Depth=1
	global_load_dword v19, v[4:5], off offset:56
	global_load_dword v20, v[6:7], off offset:8
	s_waitcnt vmcnt(0)
	v_fmac_f32_e32 v17, v19, v20
.LBB3_33:                               ;   in Loop: Header=BB3_3 Depth=1
	s_or_b64 exec, exec, s[74:75]
	s_and_b64 s[24:25], s[24:25], s[20:21]
	s_and_b64 s[74:75], s[24:25], vcc
	s_and_b64 s[74:75], s[74:75], s[22:23]
	s_and_b64 s[74:75], s[74:75], s[14:15]
	v_lshl_add_u64 v[6:7], s[62:63], 2, v[6:7]
	s_and_b64 s[76:77], s[74:75], s[0:1]
	s_and_saveexec_b64 s[74:75], s[76:77]
	s_cbranch_execz .LBB3_35
; %bb.34:                               ;   in Loop: Header=BB3_3 Depth=1
	global_load_dword v19, v[4:5], off offset:60
	global_load_dword v20, v[6:7], off
	s_waitcnt vmcnt(0)
	v_fmac_f32_e32 v17, v19, v20
.LBB3_35:                               ;   in Loop: Header=BB3_3 Depth=1
	s_or_b64 exec, exec, s[74:75]
	s_and_b64 s[74:75], s[24:25], s[2:3]
	s_and_b64 s[74:75], s[74:75], s[22:23]
	;; [unrolled: 1-line block ×4, first 2 shown]
	s_and_saveexec_b64 s[74:75], s[76:77]
	s_cbranch_execz .LBB3_37
; %bb.36:                               ;   in Loop: Header=BB3_3 Depth=1
	global_load_dword v19, v[4:5], off offset:64
	global_load_dword v20, v[6:7], off offset:4
	s_waitcnt vmcnt(0)
	v_fmac_f32_e32 v17, v19, v20
.LBB3_37:                               ;   in Loop: Header=BB3_3 Depth=1
	s_or_b64 exec, exec, s[74:75]
	s_and_b64 s[24:25], s[24:25], s[6:7]
	s_and_b64 s[22:23], s[24:25], s[22:23]
	;; [unrolled: 1-line block ×4, first 2 shown]
	s_and_saveexec_b64 s[22:23], s[24:25]
	s_cbranch_execz .LBB3_39
; %bb.38:                               ;   in Loop: Header=BB3_3 Depth=1
	global_load_dword v19, v[4:5], off offset:68
	global_load_dword v20, v[6:7], off offset:8
	s_waitcnt vmcnt(0)
	v_fmac_f32_e32 v17, v19, v20
.LBB3_39:                               ;   in Loop: Header=BB3_3 Depth=1
	s_or_b64 exec, exec, s[22:23]
	v_cmp_lt_i32_e64 s[24:25], -3, v18
	v_add_u32_e32 v19, 2, v18
	s_and_b64 s[16:17], s[24:25], s[16:17]
	v_cmp_gt_i32_e64 s[22:23], s29, v19
	s_and_b64 s[74:75], s[16:17], vcc
	s_and_b64 s[74:75], s[74:75], s[22:23]
	v_lshl_add_u64 v[6:7], s[62:63], 2, v[6:7]
	s_and_b64 s[74:75], s[74:75], s[10:11]
	v_lshl_add_u64 v[6:7], s[64:65], 2, v[6:7]
	s_and_b64 s[76:77], s[74:75], s[0:1]
	s_and_saveexec_b64 s[74:75], s[76:77]
	s_cbranch_execz .LBB3_41
; %bb.40:                               ;   in Loop: Header=BB3_3 Depth=1
	global_load_dword v18, v[4:5], off offset:72
	global_load_dword v19, v[6:7], off
	s_waitcnt vmcnt(0)
	v_fmac_f32_e32 v17, v18, v19
.LBB3_41:                               ;   in Loop: Header=BB3_3 Depth=1
	s_or_b64 exec, exec, s[74:75]
	s_and_b64 s[74:75], s[16:17], s[2:3]
	s_and_b64 s[74:75], s[74:75], s[22:23]
	;; [unrolled: 1-line block ×4, first 2 shown]
	s_and_saveexec_b64 s[74:75], s[76:77]
	s_cbranch_execz .LBB3_43
; %bb.42:                               ;   in Loop: Header=BB3_3 Depth=1
	global_load_dword v18, v[4:5], off offset:76
	global_load_dword v19, v[6:7], off offset:4
	s_waitcnt vmcnt(0)
	v_fmac_f32_e32 v17, v18, v19
.LBB3_43:                               ;   in Loop: Header=BB3_3 Depth=1
	s_or_b64 exec, exec, s[74:75]
	s_and_b64 s[16:17], s[16:17], s[6:7]
	s_and_b64 s[16:17], s[16:17], s[22:23]
	;; [unrolled: 1-line block ×4, first 2 shown]
	s_and_saveexec_b64 s[10:11], s[16:17]
	s_cbranch_execz .LBB3_45
; %bb.44:                               ;   in Loop: Header=BB3_3 Depth=1
	global_load_dword v18, v[4:5], off offset:80
	global_load_dword v19, v[6:7], off offset:8
	s_waitcnt vmcnt(0)
	v_fmac_f32_e32 v17, v18, v19
.LBB3_45:                               ;   in Loop: Header=BB3_3 Depth=1
	s_or_b64 exec, exec, s[10:11]
	s_and_b64 s[10:11], s[24:25], s[18:19]
	s_and_b64 s[16:17], s[10:11], vcc
	s_and_b64 s[16:17], s[16:17], s[22:23]
	s_and_b64 s[16:17], s[16:17], s[12:13]
	v_lshl_add_u64 v[6:7], s[62:63], 2, v[6:7]
	s_and_b64 s[18:19], s[16:17], s[0:1]
	s_and_saveexec_b64 s[16:17], s[18:19]
	s_cbranch_execz .LBB3_47
; %bb.46:                               ;   in Loop: Header=BB3_3 Depth=1
	global_load_dword v18, v[4:5], off offset:84
	global_load_dword v19, v[6:7], off
	s_waitcnt vmcnt(0)
	v_fmac_f32_e32 v17, v18, v19
.LBB3_47:                               ;   in Loop: Header=BB3_3 Depth=1
	s_or_b64 exec, exec, s[16:17]
	s_and_b64 s[16:17], s[10:11], s[2:3]
	s_and_b64 s[16:17], s[16:17], s[22:23]
	;; [unrolled: 1-line block ×4, first 2 shown]
	s_and_saveexec_b64 s[16:17], s[18:19]
	s_cbranch_execz .LBB3_49
; %bb.48:                               ;   in Loop: Header=BB3_3 Depth=1
	global_load_dword v18, v[4:5], off offset:88
	global_load_dword v19, v[6:7], off offset:4
	s_waitcnt vmcnt(0)
	v_fmac_f32_e32 v17, v18, v19
.LBB3_49:                               ;   in Loop: Header=BB3_3 Depth=1
	s_or_b64 exec, exec, s[16:17]
	s_and_b64 s[10:11], s[10:11], s[6:7]
	s_and_b64 s[10:11], s[10:11], s[22:23]
	;; [unrolled: 1-line block ×4, first 2 shown]
	s_and_saveexec_b64 s[10:11], s[12:13]
	s_cbranch_execz .LBB3_51
; %bb.50:                               ;   in Loop: Header=BB3_3 Depth=1
	global_load_dword v18, v[4:5], off offset:92
	global_load_dword v19, v[6:7], off offset:8
	s_waitcnt vmcnt(0)
	v_fmac_f32_e32 v17, v18, v19
.LBB3_51:                               ;   in Loop: Header=BB3_3 Depth=1
	s_or_b64 exec, exec, s[10:11]
	s_and_b64 s[10:11], s[24:25], s[20:21]
	s_and_b64 s[12:13], s[10:11], vcc
	s_and_b64 s[12:13], s[12:13], s[22:23]
	s_and_b64 s[12:13], s[12:13], s[14:15]
	v_lshl_add_u64 v[6:7], s[62:63], 2, v[6:7]
	s_and_b64 s[12:13], s[12:13], s[0:1]
	s_and_saveexec_b64 s[0:1], s[12:13]
	s_cbranch_execz .LBB3_53
; %bb.52:                               ;   in Loop: Header=BB3_3 Depth=1
	global_load_dword v18, v[4:5], off offset:96
	global_load_dword v19, v[6:7], off
	s_waitcnt vmcnt(0)
	v_fmac_f32_e32 v17, v18, v19
.LBB3_53:                               ;   in Loop: Header=BB3_3 Depth=1
	s_or_b64 exec, exec, s[0:1]
	s_and_b64 s[0:1], s[10:11], s[2:3]
	s_and_b64 s[0:1], s[0:1], s[22:23]
	;; [unrolled: 1-line block ×4, first 2 shown]
	s_and_saveexec_b64 s[0:1], s[2:3]
	s_cbranch_execz .LBB3_55
; %bb.54:                               ;   in Loop: Header=BB3_3 Depth=1
	global_load_dword v18, v[4:5], off offset:100
	global_load_dword v19, v[6:7], off offset:4
	s_waitcnt vmcnt(0)
	v_fmac_f32_e32 v17, v18, v19
.LBB3_55:                               ;   in Loop: Header=BB3_3 Depth=1
	s_or_b64 exec, exec, s[0:1]
	s_and_b64 s[0:1], s[10:11], s[6:7]
	s_and_b64 s[0:1], s[0:1], s[22:23]
	;; [unrolled: 1-line block ×4, first 2 shown]
	s_and_saveexec_b64 s[0:1], s[2:3]
	s_cbranch_execz .LBB3_57
; %bb.56:                               ;   in Loop: Header=BB3_3 Depth=1
	global_load_dword v4, v[4:5], off offset:104
	s_nop 0
	global_load_dword v5, v[6:7], off offset:8
	s_waitcnt vmcnt(0)
	v_fmac_f32_e32 v17, v4, v5
.LBB3_57:                               ;   in Loop: Header=BB3_3 Depth=1
	s_or_b64 exec, exec, s[0:1]
	s_andn2_b64 vcc, exec, s[66:67]
	s_cbranch_vccnz .LBB3_2
; %bb.58:                               ;   in Loop: Header=BB3_3 Depth=1
	v_lshl_add_u64 v[4:5], v[2:3], 2, s[58:59]
	global_load_dword v3, v[4:5], off
	s_waitcnt vmcnt(0)
	v_add_f32_e32 v17, v17, v3
	s_branch .LBB3_2
.LBB3_59:
	s_endpgm
	.section	.rodata,"a",@progbits
	.p2align	6, 0x0
	.amdhsa_kernel _ZN2at6native12_GLOBAL__N_128conv_depthwise3d_cuda_kernelIffLi3ELi3ELi3ELi1ELi1ELi1EEEvN5torch10headeronly6detail27GenericPackedTensorAccessorINS5_14TensorAccessorIN3c108ArrayRefIlEEKT_Lm4ENS4_16DefaultPtrTraitsEiEENS_6detail16IndexBoundsCheckILm5EiEESC_Lm5ESD_iEENS6_INS7_ISA_SB_Lm4ESD_iEESH_SB_Lm5ESD_iEESI_PSC_iiiiiiiii
		.amdhsa_group_segment_fixed_size 0
		.amdhsa_private_segment_fixed_size 0
		.amdhsa_kernarg_size 448
		.amdhsa_user_sgpr_count 2
		.amdhsa_user_sgpr_dispatch_ptr 0
		.amdhsa_user_sgpr_queue_ptr 0
		.amdhsa_user_sgpr_kernarg_segment_ptr 1
		.amdhsa_user_sgpr_dispatch_id 0
		.amdhsa_user_sgpr_kernarg_preload_length 0
		.amdhsa_user_sgpr_kernarg_preload_offset 0
		.amdhsa_user_sgpr_private_segment_size 0
		.amdhsa_uses_dynamic_stack 0
		.amdhsa_enable_private_segment 0
		.amdhsa_system_sgpr_workgroup_id_x 1
		.amdhsa_system_sgpr_workgroup_id_y 0
		.amdhsa_system_sgpr_workgroup_id_z 0
		.amdhsa_system_sgpr_workgroup_info 0
		.amdhsa_system_vgpr_workitem_id 0
		.amdhsa_next_free_vgpr 24
		.amdhsa_next_free_sgpr 90
		.amdhsa_accum_offset 24
		.amdhsa_reserve_vcc 1
		.amdhsa_float_round_mode_32 0
		.amdhsa_float_round_mode_16_64 0
		.amdhsa_float_denorm_mode_32 3
		.amdhsa_float_denorm_mode_16_64 3
		.amdhsa_dx10_clamp 1
		.amdhsa_ieee_mode 1
		.amdhsa_fp16_overflow 0
		.amdhsa_tg_split 0
		.amdhsa_exception_fp_ieee_invalid_op 0
		.amdhsa_exception_fp_denorm_src 0
		.amdhsa_exception_fp_ieee_div_zero 0
		.amdhsa_exception_fp_ieee_overflow 0
		.amdhsa_exception_fp_ieee_underflow 0
		.amdhsa_exception_fp_ieee_inexact 0
		.amdhsa_exception_int_div_zero 0
	.end_amdhsa_kernel
	.section	.text._ZN2at6native12_GLOBAL__N_128conv_depthwise3d_cuda_kernelIffLi3ELi3ELi3ELi1ELi1ELi1EEEvN5torch10headeronly6detail27GenericPackedTensorAccessorINS5_14TensorAccessorIN3c108ArrayRefIlEEKT_Lm4ENS4_16DefaultPtrTraitsEiEENS_6detail16IndexBoundsCheckILm5EiEESC_Lm5ESD_iEENS6_INS7_ISA_SB_Lm4ESD_iEESH_SB_Lm5ESD_iEESI_PSC_iiiiiiiii,"axG",@progbits,_ZN2at6native12_GLOBAL__N_128conv_depthwise3d_cuda_kernelIffLi3ELi3ELi3ELi1ELi1ELi1EEEvN5torch10headeronly6detail27GenericPackedTensorAccessorINS5_14TensorAccessorIN3c108ArrayRefIlEEKT_Lm4ENS4_16DefaultPtrTraitsEiEENS_6detail16IndexBoundsCheckILm5EiEESC_Lm5ESD_iEENS6_INS7_ISA_SB_Lm4ESD_iEESH_SB_Lm5ESD_iEESI_PSC_iiiiiiiii,comdat
.Lfunc_end3:
	.size	_ZN2at6native12_GLOBAL__N_128conv_depthwise3d_cuda_kernelIffLi3ELi3ELi3ELi1ELi1ELi1EEEvN5torch10headeronly6detail27GenericPackedTensorAccessorINS5_14TensorAccessorIN3c108ArrayRefIlEEKT_Lm4ENS4_16DefaultPtrTraitsEiEENS_6detail16IndexBoundsCheckILm5EiEESC_Lm5ESD_iEENS6_INS7_ISA_SB_Lm4ESD_iEESH_SB_Lm5ESD_iEESI_PSC_iiiiiiiii, .Lfunc_end3-_ZN2at6native12_GLOBAL__N_128conv_depthwise3d_cuda_kernelIffLi3ELi3ELi3ELi1ELi1ELi1EEEvN5torch10headeronly6detail27GenericPackedTensorAccessorINS5_14TensorAccessorIN3c108ArrayRefIlEEKT_Lm4ENS4_16DefaultPtrTraitsEiEENS_6detail16IndexBoundsCheckILm5EiEESC_Lm5ESD_iEENS6_INS7_ISA_SB_Lm4ESD_iEESH_SB_Lm5ESD_iEESI_PSC_iiiiiiiii
                                        ; -- End function
	.set _ZN2at6native12_GLOBAL__N_128conv_depthwise3d_cuda_kernelIffLi3ELi3ELi3ELi1ELi1ELi1EEEvN5torch10headeronly6detail27GenericPackedTensorAccessorINS5_14TensorAccessorIN3c108ArrayRefIlEEKT_Lm4ENS4_16DefaultPtrTraitsEiEENS_6detail16IndexBoundsCheckILm5EiEESC_Lm5ESD_iEENS6_INS7_ISA_SB_Lm4ESD_iEESH_SB_Lm5ESD_iEESI_PSC_iiiiiiiii.num_vgpr, 24
	.set _ZN2at6native12_GLOBAL__N_128conv_depthwise3d_cuda_kernelIffLi3ELi3ELi3ELi1ELi1ELi1EEEvN5torch10headeronly6detail27GenericPackedTensorAccessorINS5_14TensorAccessorIN3c108ArrayRefIlEEKT_Lm4ENS4_16DefaultPtrTraitsEiEENS_6detail16IndexBoundsCheckILm5EiEESC_Lm5ESD_iEENS6_INS7_ISA_SB_Lm4ESD_iEESH_SB_Lm5ESD_iEESI_PSC_iiiiiiiii.num_agpr, 0
	.set _ZN2at6native12_GLOBAL__N_128conv_depthwise3d_cuda_kernelIffLi3ELi3ELi3ELi1ELi1ELi1EEEvN5torch10headeronly6detail27GenericPackedTensorAccessorINS5_14TensorAccessorIN3c108ArrayRefIlEEKT_Lm4ENS4_16DefaultPtrTraitsEiEENS_6detail16IndexBoundsCheckILm5EiEESC_Lm5ESD_iEENS6_INS7_ISA_SB_Lm4ESD_iEESH_SB_Lm5ESD_iEESI_PSC_iiiiiiiii.numbered_sgpr, 90
	.set _ZN2at6native12_GLOBAL__N_128conv_depthwise3d_cuda_kernelIffLi3ELi3ELi3ELi1ELi1ELi1EEEvN5torch10headeronly6detail27GenericPackedTensorAccessorINS5_14TensorAccessorIN3c108ArrayRefIlEEKT_Lm4ENS4_16DefaultPtrTraitsEiEENS_6detail16IndexBoundsCheckILm5EiEESC_Lm5ESD_iEENS6_INS7_ISA_SB_Lm4ESD_iEESH_SB_Lm5ESD_iEESI_PSC_iiiiiiiii.num_named_barrier, 0
	.set _ZN2at6native12_GLOBAL__N_128conv_depthwise3d_cuda_kernelIffLi3ELi3ELi3ELi1ELi1ELi1EEEvN5torch10headeronly6detail27GenericPackedTensorAccessorINS5_14TensorAccessorIN3c108ArrayRefIlEEKT_Lm4ENS4_16DefaultPtrTraitsEiEENS_6detail16IndexBoundsCheckILm5EiEESC_Lm5ESD_iEENS6_INS7_ISA_SB_Lm4ESD_iEESH_SB_Lm5ESD_iEESI_PSC_iiiiiiiii.private_seg_size, 0
	.set _ZN2at6native12_GLOBAL__N_128conv_depthwise3d_cuda_kernelIffLi3ELi3ELi3ELi1ELi1ELi1EEEvN5torch10headeronly6detail27GenericPackedTensorAccessorINS5_14TensorAccessorIN3c108ArrayRefIlEEKT_Lm4ENS4_16DefaultPtrTraitsEiEENS_6detail16IndexBoundsCheckILm5EiEESC_Lm5ESD_iEENS6_INS7_ISA_SB_Lm4ESD_iEESH_SB_Lm5ESD_iEESI_PSC_iiiiiiiii.uses_vcc, 1
	.set _ZN2at6native12_GLOBAL__N_128conv_depthwise3d_cuda_kernelIffLi3ELi3ELi3ELi1ELi1ELi1EEEvN5torch10headeronly6detail27GenericPackedTensorAccessorINS5_14TensorAccessorIN3c108ArrayRefIlEEKT_Lm4ENS4_16DefaultPtrTraitsEiEENS_6detail16IndexBoundsCheckILm5EiEESC_Lm5ESD_iEENS6_INS7_ISA_SB_Lm4ESD_iEESH_SB_Lm5ESD_iEESI_PSC_iiiiiiiii.uses_flat_scratch, 0
	.set _ZN2at6native12_GLOBAL__N_128conv_depthwise3d_cuda_kernelIffLi3ELi3ELi3ELi1ELi1ELi1EEEvN5torch10headeronly6detail27GenericPackedTensorAccessorINS5_14TensorAccessorIN3c108ArrayRefIlEEKT_Lm4ENS4_16DefaultPtrTraitsEiEENS_6detail16IndexBoundsCheckILm5EiEESC_Lm5ESD_iEENS6_INS7_ISA_SB_Lm4ESD_iEESH_SB_Lm5ESD_iEESI_PSC_iiiiiiiii.has_dyn_sized_stack, 0
	.set _ZN2at6native12_GLOBAL__N_128conv_depthwise3d_cuda_kernelIffLi3ELi3ELi3ELi1ELi1ELi1EEEvN5torch10headeronly6detail27GenericPackedTensorAccessorINS5_14TensorAccessorIN3c108ArrayRefIlEEKT_Lm4ENS4_16DefaultPtrTraitsEiEENS_6detail16IndexBoundsCheckILm5EiEESC_Lm5ESD_iEENS6_INS7_ISA_SB_Lm4ESD_iEESH_SB_Lm5ESD_iEESI_PSC_iiiiiiiii.has_recursion, 0
	.set _ZN2at6native12_GLOBAL__N_128conv_depthwise3d_cuda_kernelIffLi3ELi3ELi3ELi1ELi1ELi1EEEvN5torch10headeronly6detail27GenericPackedTensorAccessorINS5_14TensorAccessorIN3c108ArrayRefIlEEKT_Lm4ENS4_16DefaultPtrTraitsEiEENS_6detail16IndexBoundsCheckILm5EiEESC_Lm5ESD_iEENS6_INS7_ISA_SB_Lm4ESD_iEESH_SB_Lm5ESD_iEESI_PSC_iiiiiiiii.has_indirect_call, 0
	.section	.AMDGPU.csdata,"",@progbits
; Kernel info:
; codeLenInByte = 3104
; TotalNumSgprs: 96
; NumVgprs: 24
; NumAgprs: 0
; TotalNumVgprs: 24
; ScratchSize: 0
; MemoryBound: 0
; FloatMode: 240
; IeeeMode: 1
; LDSByteSize: 0 bytes/workgroup (compile time only)
; SGPRBlocks: 11
; VGPRBlocks: 2
; NumSGPRsForWavesPerEU: 96
; NumVGPRsForWavesPerEU: 24
; AccumOffset: 24
; Occupancy: 8
; WaveLimiterHint : 0
; COMPUTE_PGM_RSRC2:SCRATCH_EN: 0
; COMPUTE_PGM_RSRC2:USER_SGPR: 2
; COMPUTE_PGM_RSRC2:TRAP_HANDLER: 0
; COMPUTE_PGM_RSRC2:TGID_X_EN: 1
; COMPUTE_PGM_RSRC2:TGID_Y_EN: 0
; COMPUTE_PGM_RSRC2:TGID_Z_EN: 0
; COMPUTE_PGM_RSRC2:TIDIG_COMP_CNT: 0
; COMPUTE_PGM_RSRC3_GFX90A:ACCUM_OFFSET: 5
; COMPUTE_PGM_RSRC3_GFX90A:TG_SPLIT: 0
	.section	.text._ZN2at6native12_GLOBAL__N_128conv_depthwise3d_cuda_kernelIffLin1ELin1ELin1ELi1ELi1ELi1EEEvN5torch10headeronly6detail27GenericPackedTensorAccessorINS5_14TensorAccessorIN3c108ArrayRefIlEEKT_Lm4ENS4_16DefaultPtrTraitsEiEENS_6detail16IndexBoundsCheckILm5EiEESC_Lm5ESD_iEENS6_INS7_ISA_SB_Lm4ESD_iEESH_SB_Lm5ESD_iEESI_PSC_iiiiiiiii,"axG",@progbits,_ZN2at6native12_GLOBAL__N_128conv_depthwise3d_cuda_kernelIffLin1ELin1ELin1ELi1ELi1ELi1EEEvN5torch10headeronly6detail27GenericPackedTensorAccessorINS5_14TensorAccessorIN3c108ArrayRefIlEEKT_Lm4ENS4_16DefaultPtrTraitsEiEENS_6detail16IndexBoundsCheckILm5EiEESC_Lm5ESD_iEENS6_INS7_ISA_SB_Lm4ESD_iEESH_SB_Lm5ESD_iEESI_PSC_iiiiiiiii,comdat
	.globl	_ZN2at6native12_GLOBAL__N_128conv_depthwise3d_cuda_kernelIffLin1ELin1ELin1ELi1ELi1ELi1EEEvN5torch10headeronly6detail27GenericPackedTensorAccessorINS5_14TensorAccessorIN3c108ArrayRefIlEEKT_Lm4ENS4_16DefaultPtrTraitsEiEENS_6detail16IndexBoundsCheckILm5EiEESC_Lm5ESD_iEENS6_INS7_ISA_SB_Lm4ESD_iEESH_SB_Lm5ESD_iEESI_PSC_iiiiiiiii ; -- Begin function _ZN2at6native12_GLOBAL__N_128conv_depthwise3d_cuda_kernelIffLin1ELin1ELin1ELi1ELi1ELi1EEEvN5torch10headeronly6detail27GenericPackedTensorAccessorINS5_14TensorAccessorIN3c108ArrayRefIlEEKT_Lm4ENS4_16DefaultPtrTraitsEiEENS_6detail16IndexBoundsCheckILm5EiEESC_Lm5ESD_iEENS6_INS7_ISA_SB_Lm4ESD_iEESH_SB_Lm5ESD_iEESI_PSC_iiiiiiiii
	.p2align	8
	.type	_ZN2at6native12_GLOBAL__N_128conv_depthwise3d_cuda_kernelIffLin1ELin1ELin1ELi1ELi1ELi1EEEvN5torch10headeronly6detail27GenericPackedTensorAccessorINS5_14TensorAccessorIN3c108ArrayRefIlEEKT_Lm4ENS4_16DefaultPtrTraitsEiEENS_6detail16IndexBoundsCheckILm5EiEESC_Lm5ESD_iEENS6_INS7_ISA_SB_Lm4ESD_iEESH_SB_Lm5ESD_iEESI_PSC_iiiiiiiii,@function
_ZN2at6native12_GLOBAL__N_128conv_depthwise3d_cuda_kernelIffLin1ELin1ELin1ELi1ELi1ELi1EEEvN5torch10headeronly6detail27GenericPackedTensorAccessorINS5_14TensorAccessorIN3c108ArrayRefIlEEKT_Lm4ENS4_16DefaultPtrTraitsEiEENS_6detail16IndexBoundsCheckILm5EiEESC_Lm5ESD_iEENS6_INS7_ISA_SB_Lm4ESD_iEESH_SB_Lm5ESD_iEESI_PSC_iiiiiiiii: ; @_ZN2at6native12_GLOBAL__N_128conv_depthwise3d_cuda_kernelIffLin1ELin1ELin1ELi1ELi1ELi1EEEvN5torch10headeronly6detail27GenericPackedTensorAccessorINS5_14TensorAccessorIN3c108ArrayRefIlEEKT_Lm4ENS4_16DefaultPtrTraitsEiEENS_6detail16IndexBoundsCheckILm5EiEESC_Lm5ESD_iEENS6_INS7_ISA_SB_Lm4ESD_iEESH_SB_Lm5ESD_iEESI_PSC_iiiiiiiii
; %bb.0:
	s_load_dwordx4 s[8:11], s[0:1], 0xc
	s_load_dwordx4 s[12:15], s[0:1], 0x38
	s_load_dwordx2 s[6:7], s[0:1], 0x48
	s_load_dword s4, s[0:1], 0xcc
	v_mov_b32_e32 v3, s2
	s_waitcnt lgkmcnt(0)
	s_abs_i32 s5, s8
	v_cvt_f32_u32_e32 v2, s5
	s_add_u32 s2, s0, 0xc0
	v_mov_b32_e32 v1, 0
	s_mul_i32 s34, s7, s12
	v_rcp_iflag_f32_e32 v2, v2
	s_addc_u32 s3, s1, 0
	s_and_b32 s4, s4, 0xffff
	v_mad_u64_u32 v[0:1], s[16:17], s4, v3, v[0:1]
	v_mul_f32_e32 v2, 0x4f7ffffe, v2
	v_cvt_u32_f32_e32 v2, v2
	s_ashr_i32 s35, s34, 31
	v_cmp_gt_i64_e32 vcc, s[34:35], v[0:1]
	v_readfirstlane_b32 s16, v2
	s_and_saveexec_b64 s[18:19], vcc
	s_cbranch_execz .LBB4_17
; %bb.1:
	s_sub_i32 s17, 0, s5
	s_mul_i32 s17, s17, s16
	s_mul_hi_u32 s17, s16, s17
	s_ashr_i32 s24, s8, 31
	s_abs_i32 s8, s13
	s_add_i32 s16, s16, s17
	s_ashr_i32 s12, s13, 31
	s_mul_hi_u32 s25, s8, s16
	s_load_dwordx2 s[38:39], s[0:1], 0x90
	s_load_dwordx4 s[16:19], s[0:1], 0x98
	s_load_dwordx2 s[40:41], s[0:1], 0xa8
	s_load_dwordx4 s[20:23], s[0:1], 0x70
	s_waitcnt lgkmcnt(0)
	s_xor_b32 s23, s12, s24
	s_mul_i32 s24, s25, s5
	s_sub_i32 s24, s8, s24
	s_add_i32 s26, s25, 1
	s_sub_i32 s27, s24, s5
	s_cmp_ge_u32 s24, s5
	s_cselect_b32 s25, s26, s25
	s_cselect_b32 s24, s27, s24
	s_add_i32 s26, s25, 1
	s_cmp_ge_u32 s24, s5
	s_cselect_b32 s5, s26, s25
	s_xor_b32 s5, s5, s23
	s_sub_i32 s5, s5, s23
	s_cmp_gt_i32 s20, 0
	s_cselect_b64 s[44:45], -1, 0
	s_cmp_gt_i32 s21, 0
	s_cselect_b64 s[46:47], -1, 0
	s_cmp_gt_i32 s22, 0
	s_load_dword s36, s[2:3], 0x0
	s_load_dword s23, s[0:1], 0x7c
	s_load_dwordx2 s[42:43], s[0:1], 0x0
	s_load_dwordx4 s[24:27], s[0:1], 0x1c
	s_cselect_b64 s[48:49], -1, 0
	s_sub_i32 s2, s10, s21
	s_sub_i32 s50, s11, s22
	s_mul_i32 s52, s11, s2
	s_ashr_i32 s51, s50, 31
	s_ashr_i32 s53, s52, 31
	s_cmp_lg_u64 s[38:39], 0
	s_cselect_b64 s[54:55], -1, 0
	s_abs_i32 s33, s6
	v_cvt_f32_u32_e32 v2, s33
	s_abs_i32 s65, s15
	v_cvt_f32_u32_e32 v3, s65
	s_load_dword s64, s[0:1], 0x2c
	s_load_dwordx2 s[56:57], s[0:1], 0x30
	v_rcp_iflag_f32_e32 v2, v2
	s_load_dwordx2 s[60:61], s[0:1], 0x60
	s_load_dwordx4 s[28:31], s[0:1], 0x50
	v_rcp_iflag_f32_e32 v3, v3
	s_sub_i32 s0, 0, s33
	v_mul_f32_e32 v2, 0x4f7ffffe, v2
	v_cvt_u32_f32_e32 v2, v2
	s_abs_i32 s67, s14
	s_abs_i32 s70, s5
	v_cvt_f32_u32_e32 v5, s70
	v_mul_lo_u32 v4, s0, v2
	v_mul_hi_u32 v4, v2, v4
	v_add_u32_e32 v8, v2, v4
	v_mul_f32_e32 v2, 0x4f7ffffe, v3
	v_cvt_f32_u32_e32 v3, s67
	v_cvt_u32_f32_e32 v2, v2
	s_sub_i32 s0, 0, s65
	s_mov_b32 s37, 0
	v_rcp_iflag_f32_e32 v3, v3
	v_mul_lo_u32 v4, s0, v2
	v_mul_hi_u32 v4, v2, v4
	v_add_u32_e32 v9, v2, v4
	v_mul_f32_e32 v2, 0x4f7ffffe, v3
	v_cvt_u32_f32_e32 v2, v2
	v_cvt_f32_u32_e32 v3, s8
	s_sub_i32 s0, 0, s67
	s_mov_b64 s[58:59], 0
	v_mul_lo_u32 v4, s0, v2
	v_rcp_iflag_f32_e32 v3, v3
	v_mul_hi_u32 v4, v2, v4
	v_add_u32_e32 v10, v2, v4
	v_rcp_iflag_f32_e32 v2, v5
	v_mul_f32_e32 v3, 0x4f7ffffe, v3
	v_cvt_u32_f32_e32 v3, v3
	s_sub_i32 s0, 0, s8
	v_mul_f32_e32 v2, 0x4f7ffffe, v2
	v_cvt_u32_f32_e32 v2, v2
	v_mul_lo_u32 v4, s0, v3
	v_mul_hi_u32 v4, v3, v4
	s_sub_i32 s0, 0, s70
	v_add_u32_e32 v11, v3, v4
	v_mul_lo_u32 v3, s0, v2
	v_mul_hi_u32 v3, v2, v3
	s_waitcnt lgkmcnt(0)
	s_mul_i32 s36, s36, s4
	s_ashr_i32 s66, s6, 31
	s_ashr_i32 s68, s15, 31
	;; [unrolled: 1-line block ×4, first 2 shown]
	v_add_u32_e32 v12, v2, v3
	s_branch .LBB4_3
.LBB4_2:                                ;   in Loop: Header=BB4_3 Depth=1
	v_mul_lo_u32 v4, v16, s7
	v_ashrrev_i32_e32 v5, 31, v4
	v_mul_lo_u32 v2, s28, v2
	v_lshl_add_u64 v[4:5], v[4:5], 2, s[56:57]
	v_ashrrev_i32_e32 v3, 31, v2
	v_lshl_add_u64 v[2:3], v[2:3], 2, v[4:5]
	v_mul_lo_u32 v4, s29, v15
	v_ashrrev_i32_e32 v5, 31, v4
	v_lshl_add_u64 v[2:3], v[4:5], 2, v[2:3]
	v_mul_lo_u32 v4, s30, v14
	;; [unrolled: 3-line block ×3, first 2 shown]
	v_lshl_add_u64 v[0:1], v[0:1], 0, s[36:37]
	v_ashrrev_i32_e32 v5, 31, v4
	v_cmp_le_i64_e32 vcc, s[34:35], v[0:1]
	v_lshl_add_u64 v[2:3], v[4:5], 2, v[2:3]
	s_or_b64 s[58:59], vcc, s[58:59]
	global_store_dword v[2:3], v18, off
	s_andn2_b64 exec, exec, s[58:59]
	s_cbranch_execz .LBB4_17
.LBB4_3:                                ; =>This Loop Header: Depth=1
                                        ;     Child Loop BB4_6 Depth 2
                                        ;       Child Loop BB4_9 Depth 3
                                        ;         Child Loop BB4_12 Depth 4
	v_sub_u32_e32 v3, 0, v0
	v_max_i32_e32 v3, v0, v3
	v_mul_hi_u32 v4, v3, v8
	v_mul_lo_u32 v5, v4, s33
	v_sub_u32_e32 v3, v3, v5
	v_add_u32_e32 v5, 1, v4
	v_cmp_le_u32_e32 vcc, s33, v3
	v_ashrrev_i32_e32 v2, 31, v0
	v_xor_b32_e32 v2, s66, v2
	v_cndmask_b32_e32 v4, v4, v5, vcc
	v_subrev_u32_e32 v5, s33, v3
	v_cndmask_b32_e32 v3, v3, v5, vcc
	v_add_u32_e32 v5, 1, v4
	v_cmp_le_u32_e32 vcc, s33, v3
	s_nop 1
	v_cndmask_b32_e32 v3, v4, v5, vcc
	v_xor_b32_e32 v3, v3, v2
	v_sub_u32_e32 v2, v3, v2
	v_sub_u32_e32 v4, 0, v2
	v_max_i32_e32 v4, v2, v4
	v_mul_hi_u32 v5, v4, v9
	v_mul_lo_u32 v6, v5, s65
	v_sub_u32_e32 v4, v4, v6
	v_add_u32_e32 v6, 1, v5
	v_cmp_le_u32_e32 vcc, s65, v4
	v_mul_lo_u32 v3, v2, s6
	v_sub_u32_e32 v13, v0, v3
	v_cndmask_b32_e32 v5, v5, v6, vcc
	v_subrev_u32_e32 v6, s65, v4
	v_cndmask_b32_e32 v4, v4, v6, vcc
	v_ashrrev_i32_e32 v3, 31, v2
	v_add_u32_e32 v6, 1, v5
	v_cmp_le_u32_e32 vcc, s65, v4
	v_xor_b32_e32 v3, s68, v3
	s_nop 0
	v_cndmask_b32_e32 v4, v5, v6, vcc
	v_xor_b32_e32 v4, v4, v3
	v_sub_u32_e32 v3, v4, v3
	v_mul_lo_u32 v4, v3, s15
	v_sub_u32_e32 v14, v2, v4
	v_sub_u32_e32 v4, 0, v3
	v_max_i32_e32 v4, v3, v4
	v_mul_hi_u32 v5, v4, v10
	v_mul_lo_u32 v6, v5, s67
	v_sub_u32_e32 v4, v4, v6
	v_add_u32_e32 v6, 1, v5
	v_cmp_le_u32_e32 vcc, s67, v4
	v_ashrrev_i32_e32 v2, 31, v3
	v_xor_b32_e32 v2, s69, v2
	v_cndmask_b32_e32 v5, v5, v6, vcc
	v_subrev_u32_e32 v6, s67, v4
	v_cndmask_b32_e32 v4, v4, v6, vcc
	v_add_u32_e32 v6, 1, v5
	v_cmp_le_u32_e32 vcc, s67, v4
	s_nop 1
	v_cndmask_b32_e32 v4, v5, v6, vcc
	v_xor_b32_e32 v4, v4, v2
	v_sub_u32_e32 v2, v4, v2
	v_mul_lo_u32 v4, v2, s14
	v_sub_u32_e32 v15, v3, v4
	v_sub_u32_e32 v4, 0, v2
	v_max_i32_e32 v4, v2, v4
	v_mul_hi_u32 v5, v4, v11
	v_mul_lo_u32 v6, v5, s8
	v_sub_u32_e32 v4, v4, v6
	v_add_u32_e32 v6, 1, v5
	v_cmp_le_u32_e32 vcc, s8, v4
	v_ashrrev_i32_e32 v3, 31, v2
	v_xor_b32_e32 v3, s12, v3
	v_cndmask_b32_e32 v5, v5, v6, vcc
	v_subrev_u32_e32 v6, s8, v4
	v_cndmask_b32_e32 v4, v4, v6, vcc
	v_add_u32_e32 v6, 1, v5
	v_cmp_le_u32_e32 vcc, s8, v4
	s_nop 1
	v_cndmask_b32_e32 v4, v5, v6, vcc
	v_xor_b32_e32 v4, v4, v3
	v_sub_u32_e32 v16, v4, v3
	v_mul_lo_u32 v3, v16, s13
	v_sub_u32_e32 v2, v2, v3
	s_andn2_b64 vcc, exec, s[44:45]
	v_ashrrev_i32_e32 v3, 31, v2
	s_cbranch_vccnz .LBB4_14
; %bb.4:                                ;   in Loop: Header=BB4_3 Depth=1
	v_sub_u32_e32 v7, 0, v2
	v_max_i32_e32 v7, v2, v7
	v_mul_hi_u32 v18, v7, v12
	v_mul_lo_u32 v21, v18, s70
	v_sub_u32_e32 v7, v7, v21
	v_add_u32_e32 v21, 1, v18
	v_cmp_le_u32_e32 vcc, s70, v7
	v_mul_lo_u32 v4, v13, s18
	v_subrev_u32_e32 v17, s41, v4
	v_cndmask_b32_e32 v18, v18, v21, vcc
	v_subrev_u32_e32 v21, s70, v7
	v_cndmask_b32_e32 v7, v7, v21, vcc
	v_add_u32_e32 v21, 1, v18
	v_cmp_le_u32_e32 vcc, s70, v7
	v_mul_lo_u32 v4, v14, s17
	v_xor_b32_e32 v6, s71, v3
	v_cndmask_b32_e32 v7, v18, v21, vcc
	v_subrev_u32_e32 v19, s40, v4
	v_mul_lo_u32 v4, v15, s16
	v_xor_b32_e32 v7, v7, v6
	v_subrev_u32_e32 v20, s19, v4
	v_mul_lo_u32 v4, s24, v16
	v_sub_u32_e32 v6, v7, v6
	v_ashrrev_i32_e32 v5, 31, v4
	v_mul_lo_u32 v6, s25, v6
	v_lshl_add_u64 v[4:5], v[4:5], 2, s[42:43]
	v_ashrrev_i32_e32 v7, 31, v6
	v_lshl_add_u64 v[4:5], v[6:7], 2, v[4:5]
	v_mul_lo_u32 v6, s26, v20
	v_ashrrev_i32_e32 v7, 31, v6
	v_lshl_add_u64 v[4:5], v[6:7], 2, v[4:5]
	v_mul_lo_u32 v6, s27, v19
	;; [unrolled: 3-line block ×4, first 2 shown]
	v_ashrrev_i32_e32 v7, 31, v6
	s_mov_b32 s72, 0
	v_lshl_add_u64 v[6:7], v[6:7], 2, s[60:61]
	v_mov_b32_e32 v18, 0
	s_branch .LBB4_6
.LBB4_5:                                ;   in Loop: Header=BB4_6 Depth=2
	s_add_i32 s72, s72, 1
	s_cmp_eq_u32 s72, s20
	v_lshl_add_u64 v[4:5], s[52:53], 2, v[4:5]
	s_cbranch_scc1 .LBB4_15
.LBB4_6:                                ;   Parent Loop BB4_3 Depth=1
                                        ; =>  This Loop Header: Depth=2
                                        ;       Child Loop BB4_9 Depth 3
                                        ;         Child Loop BB4_12 Depth 4
	s_andn2_b64 vcc, exec, s[46:47]
	s_cbranch_vccnz .LBB4_5
; %bb.7:                                ;   in Loop: Header=BB4_6 Depth=2
	v_add_u32_e32 v21, s72, v20
	v_cmp_lt_i32_e64 s[0:1], -1, v21
	v_cmp_gt_i32_e64 s[2:3], s9, v21
	s_mov_b32 s73, 0
	s_branch .LBB4_9
.LBB4_8:                                ;   in Loop: Header=BB4_9 Depth=3
	s_add_i32 s73, s73, 1
	s_cmp_eq_u32 s73, s21
	v_lshl_add_u64 v[4:5], s[50:51], 2, v[4:5]
	s_cbranch_scc1 .LBB4_5
.LBB4_9:                                ;   Parent Loop BB4_3 Depth=1
                                        ;     Parent Loop BB4_6 Depth=2
                                        ; =>    This Loop Header: Depth=3
                                        ;         Child Loop BB4_12 Depth 4
	s_andn2_b64 vcc, exec, s[48:49]
	s_cbranch_vccnz .LBB4_8
; %bb.10:                               ;   in Loop: Header=BB4_9 Depth=3
	v_add_u32_e32 v21, s73, v19
	v_cmp_lt_i32_e32 vcc, -1, v21
	s_and_b64 s[62:63], s[0:1], vcc
	v_cmp_gt_i32_e32 vcc, s10, v21
	v_mov_b32_e32 v21, v17
	s_mov_b32 s74, s22
	s_branch .LBB4_12
.LBB4_11:                               ;   in Loop: Header=BB4_12 Depth=4
	s_or_b64 exec, exec, s[4:5]
	s_add_i32 s74, s74, -1
	v_lshl_add_u64 v[6:7], v[6:7], 0, 4
	v_lshl_add_u64 v[4:5], v[4:5], 0, 4
	s_cmp_eq_u32 s74, 0
	v_add_u32_e32 v21, 1, v21
	s_cbranch_scc1 .LBB4_8
.LBB4_12:                               ;   Parent Loop BB4_3 Depth=1
                                        ;     Parent Loop BB4_6 Depth=2
                                        ;       Parent Loop BB4_9 Depth=3
                                        ; =>      This Inner Loop Header: Depth=4
	v_cmp_lt_i32_e64 s[4:5], -1, v21
	s_and_b64 s[4:5], s[62:63], s[4:5]
	s_and_b64 s[4:5], s[4:5], s[2:3]
	s_and_b64 s[76:77], s[4:5], vcc
	v_cmp_gt_i32_e64 s[4:5], s11, v21
	s_and_b64 s[76:77], s[76:77], s[4:5]
	s_and_saveexec_b64 s[4:5], s[76:77]
	s_cbranch_execz .LBB4_11
; %bb.13:                               ;   in Loop: Header=BB4_12 Depth=4
	global_load_dword v22, v[6:7], off
	global_load_dword v23, v[4:5], off
	s_waitcnt vmcnt(0)
	v_fmac_f32_e32 v18, v22, v23
	s_branch .LBB4_11
.LBB4_14:                               ;   in Loop: Header=BB4_3 Depth=1
	v_mov_b32_e32 v18, 0
.LBB4_15:                               ;   in Loop: Header=BB4_3 Depth=1
	s_and_b64 vcc, exec, s[54:55]
	s_cbranch_vccz .LBB4_2
; %bb.16:                               ;   in Loop: Header=BB4_3 Depth=1
	v_lshl_add_u64 v[4:5], v[2:3], 2, s[38:39]
	global_load_dword v3, v[4:5], off
	s_waitcnt vmcnt(0)
	v_add_f32_e32 v18, v18, v3
	s_branch .LBB4_2
.LBB4_17:
	s_endpgm
	.section	.rodata,"a",@progbits
	.p2align	6, 0x0
	.amdhsa_kernel _ZN2at6native12_GLOBAL__N_128conv_depthwise3d_cuda_kernelIffLin1ELin1ELin1ELi1ELi1ELi1EEEvN5torch10headeronly6detail27GenericPackedTensorAccessorINS5_14TensorAccessorIN3c108ArrayRefIlEEKT_Lm4ENS4_16DefaultPtrTraitsEiEENS_6detail16IndexBoundsCheckILm5EiEESC_Lm5ESD_iEENS6_INS7_ISA_SB_Lm4ESD_iEESH_SB_Lm5ESD_iEESI_PSC_iiiiiiiii
		.amdhsa_group_segment_fixed_size 0
		.amdhsa_private_segment_fixed_size 0
		.amdhsa_kernarg_size 448
		.amdhsa_user_sgpr_count 2
		.amdhsa_user_sgpr_dispatch_ptr 0
		.amdhsa_user_sgpr_queue_ptr 0
		.amdhsa_user_sgpr_kernarg_segment_ptr 1
		.amdhsa_user_sgpr_dispatch_id 0
		.amdhsa_user_sgpr_kernarg_preload_length 0
		.amdhsa_user_sgpr_kernarg_preload_offset 0
		.amdhsa_user_sgpr_private_segment_size 0
		.amdhsa_uses_dynamic_stack 0
		.amdhsa_enable_private_segment 0
		.amdhsa_system_sgpr_workgroup_id_x 1
		.amdhsa_system_sgpr_workgroup_id_y 0
		.amdhsa_system_sgpr_workgroup_id_z 0
		.amdhsa_system_sgpr_workgroup_info 0
		.amdhsa_system_vgpr_workitem_id 0
		.amdhsa_next_free_vgpr 24
		.amdhsa_next_free_sgpr 78
		.amdhsa_accum_offset 24
		.amdhsa_reserve_vcc 1
		.amdhsa_float_round_mode_32 0
		.amdhsa_float_round_mode_16_64 0
		.amdhsa_float_denorm_mode_32 3
		.amdhsa_float_denorm_mode_16_64 3
		.amdhsa_dx10_clamp 1
		.amdhsa_ieee_mode 1
		.amdhsa_fp16_overflow 0
		.amdhsa_tg_split 0
		.amdhsa_exception_fp_ieee_invalid_op 0
		.amdhsa_exception_fp_denorm_src 0
		.amdhsa_exception_fp_ieee_div_zero 0
		.amdhsa_exception_fp_ieee_overflow 0
		.amdhsa_exception_fp_ieee_underflow 0
		.amdhsa_exception_fp_ieee_inexact 0
		.amdhsa_exception_int_div_zero 0
	.end_amdhsa_kernel
	.section	.text._ZN2at6native12_GLOBAL__N_128conv_depthwise3d_cuda_kernelIffLin1ELin1ELin1ELi1ELi1ELi1EEEvN5torch10headeronly6detail27GenericPackedTensorAccessorINS5_14TensorAccessorIN3c108ArrayRefIlEEKT_Lm4ENS4_16DefaultPtrTraitsEiEENS_6detail16IndexBoundsCheckILm5EiEESC_Lm5ESD_iEENS6_INS7_ISA_SB_Lm4ESD_iEESH_SB_Lm5ESD_iEESI_PSC_iiiiiiiii,"axG",@progbits,_ZN2at6native12_GLOBAL__N_128conv_depthwise3d_cuda_kernelIffLin1ELin1ELin1ELi1ELi1ELi1EEEvN5torch10headeronly6detail27GenericPackedTensorAccessorINS5_14TensorAccessorIN3c108ArrayRefIlEEKT_Lm4ENS4_16DefaultPtrTraitsEiEENS_6detail16IndexBoundsCheckILm5EiEESC_Lm5ESD_iEENS6_INS7_ISA_SB_Lm4ESD_iEESH_SB_Lm5ESD_iEESI_PSC_iiiiiiiii,comdat
.Lfunc_end4:
	.size	_ZN2at6native12_GLOBAL__N_128conv_depthwise3d_cuda_kernelIffLin1ELin1ELin1ELi1ELi1ELi1EEEvN5torch10headeronly6detail27GenericPackedTensorAccessorINS5_14TensorAccessorIN3c108ArrayRefIlEEKT_Lm4ENS4_16DefaultPtrTraitsEiEENS_6detail16IndexBoundsCheckILm5EiEESC_Lm5ESD_iEENS6_INS7_ISA_SB_Lm4ESD_iEESH_SB_Lm5ESD_iEESI_PSC_iiiiiiiii, .Lfunc_end4-_ZN2at6native12_GLOBAL__N_128conv_depthwise3d_cuda_kernelIffLin1ELin1ELin1ELi1ELi1ELi1EEEvN5torch10headeronly6detail27GenericPackedTensorAccessorINS5_14TensorAccessorIN3c108ArrayRefIlEEKT_Lm4ENS4_16DefaultPtrTraitsEiEENS_6detail16IndexBoundsCheckILm5EiEESC_Lm5ESD_iEENS6_INS7_ISA_SB_Lm4ESD_iEESH_SB_Lm5ESD_iEESI_PSC_iiiiiiiii
                                        ; -- End function
	.set _ZN2at6native12_GLOBAL__N_128conv_depthwise3d_cuda_kernelIffLin1ELin1ELin1ELi1ELi1ELi1EEEvN5torch10headeronly6detail27GenericPackedTensorAccessorINS5_14TensorAccessorIN3c108ArrayRefIlEEKT_Lm4ENS4_16DefaultPtrTraitsEiEENS_6detail16IndexBoundsCheckILm5EiEESC_Lm5ESD_iEENS6_INS7_ISA_SB_Lm4ESD_iEESH_SB_Lm5ESD_iEESI_PSC_iiiiiiiii.num_vgpr, 24
	.set _ZN2at6native12_GLOBAL__N_128conv_depthwise3d_cuda_kernelIffLin1ELin1ELin1ELi1ELi1ELi1EEEvN5torch10headeronly6detail27GenericPackedTensorAccessorINS5_14TensorAccessorIN3c108ArrayRefIlEEKT_Lm4ENS4_16DefaultPtrTraitsEiEENS_6detail16IndexBoundsCheckILm5EiEESC_Lm5ESD_iEENS6_INS7_ISA_SB_Lm4ESD_iEESH_SB_Lm5ESD_iEESI_PSC_iiiiiiiii.num_agpr, 0
	.set _ZN2at6native12_GLOBAL__N_128conv_depthwise3d_cuda_kernelIffLin1ELin1ELin1ELi1ELi1ELi1EEEvN5torch10headeronly6detail27GenericPackedTensorAccessorINS5_14TensorAccessorIN3c108ArrayRefIlEEKT_Lm4ENS4_16DefaultPtrTraitsEiEENS_6detail16IndexBoundsCheckILm5EiEESC_Lm5ESD_iEENS6_INS7_ISA_SB_Lm4ESD_iEESH_SB_Lm5ESD_iEESI_PSC_iiiiiiiii.numbered_sgpr, 78
	.set _ZN2at6native12_GLOBAL__N_128conv_depthwise3d_cuda_kernelIffLin1ELin1ELin1ELi1ELi1ELi1EEEvN5torch10headeronly6detail27GenericPackedTensorAccessorINS5_14TensorAccessorIN3c108ArrayRefIlEEKT_Lm4ENS4_16DefaultPtrTraitsEiEENS_6detail16IndexBoundsCheckILm5EiEESC_Lm5ESD_iEENS6_INS7_ISA_SB_Lm4ESD_iEESH_SB_Lm5ESD_iEESI_PSC_iiiiiiiii.num_named_barrier, 0
	.set _ZN2at6native12_GLOBAL__N_128conv_depthwise3d_cuda_kernelIffLin1ELin1ELin1ELi1ELi1ELi1EEEvN5torch10headeronly6detail27GenericPackedTensorAccessorINS5_14TensorAccessorIN3c108ArrayRefIlEEKT_Lm4ENS4_16DefaultPtrTraitsEiEENS_6detail16IndexBoundsCheckILm5EiEESC_Lm5ESD_iEENS6_INS7_ISA_SB_Lm4ESD_iEESH_SB_Lm5ESD_iEESI_PSC_iiiiiiiii.private_seg_size, 0
	.set _ZN2at6native12_GLOBAL__N_128conv_depthwise3d_cuda_kernelIffLin1ELin1ELin1ELi1ELi1ELi1EEEvN5torch10headeronly6detail27GenericPackedTensorAccessorINS5_14TensorAccessorIN3c108ArrayRefIlEEKT_Lm4ENS4_16DefaultPtrTraitsEiEENS_6detail16IndexBoundsCheckILm5EiEESC_Lm5ESD_iEENS6_INS7_ISA_SB_Lm4ESD_iEESH_SB_Lm5ESD_iEESI_PSC_iiiiiiiii.uses_vcc, 1
	.set _ZN2at6native12_GLOBAL__N_128conv_depthwise3d_cuda_kernelIffLin1ELin1ELin1ELi1ELi1ELi1EEEvN5torch10headeronly6detail27GenericPackedTensorAccessorINS5_14TensorAccessorIN3c108ArrayRefIlEEKT_Lm4ENS4_16DefaultPtrTraitsEiEENS_6detail16IndexBoundsCheckILm5EiEESC_Lm5ESD_iEENS6_INS7_ISA_SB_Lm4ESD_iEESH_SB_Lm5ESD_iEESI_PSC_iiiiiiiii.uses_flat_scratch, 0
	.set _ZN2at6native12_GLOBAL__N_128conv_depthwise3d_cuda_kernelIffLin1ELin1ELin1ELi1ELi1ELi1EEEvN5torch10headeronly6detail27GenericPackedTensorAccessorINS5_14TensorAccessorIN3c108ArrayRefIlEEKT_Lm4ENS4_16DefaultPtrTraitsEiEENS_6detail16IndexBoundsCheckILm5EiEESC_Lm5ESD_iEENS6_INS7_ISA_SB_Lm4ESD_iEESH_SB_Lm5ESD_iEESI_PSC_iiiiiiiii.has_dyn_sized_stack, 0
	.set _ZN2at6native12_GLOBAL__N_128conv_depthwise3d_cuda_kernelIffLin1ELin1ELin1ELi1ELi1ELi1EEEvN5torch10headeronly6detail27GenericPackedTensorAccessorINS5_14TensorAccessorIN3c108ArrayRefIlEEKT_Lm4ENS4_16DefaultPtrTraitsEiEENS_6detail16IndexBoundsCheckILm5EiEESC_Lm5ESD_iEENS6_INS7_ISA_SB_Lm4ESD_iEESH_SB_Lm5ESD_iEESI_PSC_iiiiiiiii.has_recursion, 0
	.set _ZN2at6native12_GLOBAL__N_128conv_depthwise3d_cuda_kernelIffLin1ELin1ELin1ELi1ELi1ELi1EEEvN5torch10headeronly6detail27GenericPackedTensorAccessorINS5_14TensorAccessorIN3c108ArrayRefIlEEKT_Lm4ENS4_16DefaultPtrTraitsEiEENS_6detail16IndexBoundsCheckILm5EiEESC_Lm5ESD_iEENS6_INS7_ISA_SB_Lm4ESD_iEESH_SB_Lm5ESD_iEESI_PSC_iiiiiiiii.has_indirect_call, 0
	.section	.AMDGPU.csdata,"",@progbits
; Kernel info:
; codeLenInByte = 1640
; TotalNumSgprs: 84
; NumVgprs: 24
; NumAgprs: 0
; TotalNumVgprs: 24
; ScratchSize: 0
; MemoryBound: 0
; FloatMode: 240
; IeeeMode: 1
; LDSByteSize: 0 bytes/workgroup (compile time only)
; SGPRBlocks: 10
; VGPRBlocks: 2
; NumSGPRsForWavesPerEU: 84
; NumVGPRsForWavesPerEU: 24
; AccumOffset: 24
; Occupancy: 8
; WaveLimiterHint : 0
; COMPUTE_PGM_RSRC2:SCRATCH_EN: 0
; COMPUTE_PGM_RSRC2:USER_SGPR: 2
; COMPUTE_PGM_RSRC2:TRAP_HANDLER: 0
; COMPUTE_PGM_RSRC2:TGID_X_EN: 1
; COMPUTE_PGM_RSRC2:TGID_Y_EN: 0
; COMPUTE_PGM_RSRC2:TGID_Z_EN: 0
; COMPUTE_PGM_RSRC2:TIDIG_COMP_CNT: 0
; COMPUTE_PGM_RSRC3_GFX90A:ACCUM_OFFSET: 5
; COMPUTE_PGM_RSRC3_GFX90A:TG_SPLIT: 0
	.section	.text._ZN2at6native12_GLOBAL__N_128conv_depthwise3d_cuda_kernelIffLin1ELin1ELin1ELin1ELin1ELin1EEEvN5torch10headeronly6detail27GenericPackedTensorAccessorINS5_14TensorAccessorIN3c108ArrayRefIlEEKT_Lm4ENS4_16DefaultPtrTraitsEiEENS_6detail16IndexBoundsCheckILm5EiEESC_Lm5ESD_iEENS6_INS7_ISA_SB_Lm4ESD_iEESH_SB_Lm5ESD_iEESI_PSC_iiiiiiiii,"axG",@progbits,_ZN2at6native12_GLOBAL__N_128conv_depthwise3d_cuda_kernelIffLin1ELin1ELin1ELin1ELin1ELin1EEEvN5torch10headeronly6detail27GenericPackedTensorAccessorINS5_14TensorAccessorIN3c108ArrayRefIlEEKT_Lm4ENS4_16DefaultPtrTraitsEiEENS_6detail16IndexBoundsCheckILm5EiEESC_Lm5ESD_iEENS6_INS7_ISA_SB_Lm4ESD_iEESH_SB_Lm5ESD_iEESI_PSC_iiiiiiiii,comdat
	.globl	_ZN2at6native12_GLOBAL__N_128conv_depthwise3d_cuda_kernelIffLin1ELin1ELin1ELin1ELin1ELin1EEEvN5torch10headeronly6detail27GenericPackedTensorAccessorINS5_14TensorAccessorIN3c108ArrayRefIlEEKT_Lm4ENS4_16DefaultPtrTraitsEiEENS_6detail16IndexBoundsCheckILm5EiEESC_Lm5ESD_iEENS6_INS7_ISA_SB_Lm4ESD_iEESH_SB_Lm5ESD_iEESI_PSC_iiiiiiiii ; -- Begin function _ZN2at6native12_GLOBAL__N_128conv_depthwise3d_cuda_kernelIffLin1ELin1ELin1ELin1ELin1ELin1EEEvN5torch10headeronly6detail27GenericPackedTensorAccessorINS5_14TensorAccessorIN3c108ArrayRefIlEEKT_Lm4ENS4_16DefaultPtrTraitsEiEENS_6detail16IndexBoundsCheckILm5EiEESC_Lm5ESD_iEENS6_INS7_ISA_SB_Lm4ESD_iEESH_SB_Lm5ESD_iEESI_PSC_iiiiiiiii
	.p2align	8
	.type	_ZN2at6native12_GLOBAL__N_128conv_depthwise3d_cuda_kernelIffLin1ELin1ELin1ELin1ELin1ELin1EEEvN5torch10headeronly6detail27GenericPackedTensorAccessorINS5_14TensorAccessorIN3c108ArrayRefIlEEKT_Lm4ENS4_16DefaultPtrTraitsEiEENS_6detail16IndexBoundsCheckILm5EiEESC_Lm5ESD_iEENS6_INS7_ISA_SB_Lm4ESD_iEESH_SB_Lm5ESD_iEESI_PSC_iiiiiiiii,@function
_ZN2at6native12_GLOBAL__N_128conv_depthwise3d_cuda_kernelIffLin1ELin1ELin1ELin1ELin1ELin1EEEvN5torch10headeronly6detail27GenericPackedTensorAccessorINS5_14TensorAccessorIN3c108ArrayRefIlEEKT_Lm4ENS4_16DefaultPtrTraitsEiEENS_6detail16IndexBoundsCheckILm5EiEESC_Lm5ESD_iEENS6_INS7_ISA_SB_Lm4ESD_iEESH_SB_Lm5ESD_iEESI_PSC_iiiiiiiii: ; @_ZN2at6native12_GLOBAL__N_128conv_depthwise3d_cuda_kernelIffLin1ELin1ELin1ELin1ELin1ELin1EEEvN5torch10headeronly6detail27GenericPackedTensorAccessorINS5_14TensorAccessorIN3c108ArrayRefIlEEKT_Lm4ENS4_16DefaultPtrTraitsEiEENS_6detail16IndexBoundsCheckILm5EiEESC_Lm5ESD_iEENS6_INS7_ISA_SB_Lm4ESD_iEESH_SB_Lm5ESD_iEESI_PSC_iiiiiiiii
; %bb.0:
	s_load_dwordx4 s[16:19], s[0:1], 0xc
	s_load_dwordx4 s[20:23], s[0:1], 0x38
	s_load_dwordx2 s[6:7], s[0:1], 0x48
	s_load_dword s4, s[0:1], 0xcc
	v_mov_b32_e32 v3, s2
	s_waitcnt lgkmcnt(0)
	s_abs_i32 s5, s16
	v_cvt_f32_u32_e32 v2, s5
	s_add_u32 s2, s0, 0xc0
	v_mov_b32_e32 v1, 0
	s_mul_i32 s34, s7, s20
	v_rcp_iflag_f32_e32 v2, v2
	s_addc_u32 s3, s1, 0
	s_and_b32 s4, s4, 0xffff
	v_mad_u64_u32 v[0:1], s[8:9], s4, v3, v[0:1]
	v_mul_f32_e32 v2, 0x4f7ffffe, v2
	v_cvt_u32_f32_e32 v2, v2
	s_ashr_i32 s35, s34, 31
	v_cmp_gt_i64_e32 vcc, s[34:35], v[0:1]
	v_readfirstlane_b32 s8, v2
	s_and_saveexec_b64 s[10:11], vcc
	s_cbranch_execz .LBB5_17
; %bb.1:
	s_sub_i32 s9, 0, s5
	s_mul_i32 s9, s9, s8
	s_mul_hi_u32 s9, s8, s9
	s_ashr_i32 s28, s16, 31
	s_abs_i32 s16, s21
	s_add_i32 s8, s8, s9
	s_ashr_i32 s20, s21, 31
	s_mul_hi_u32 s29, s16, s8
	s_load_dwordx2 s[42:43], s[0:1], 0x90
	s_load_dwordx8 s[8:15], s[0:1], 0x98
	s_load_dword s44, s[0:1], 0xb8
	s_load_dwordx4 s[24:27], s[0:1], 0x70
	s_waitcnt lgkmcnt(0)
	s_xor_b32 s27, s20, s28
	s_mul_i32 s28, s29, s5
	s_sub_i32 s28, s16, s28
	s_add_i32 s30, s29, 1
	s_sub_i32 s31, s28, s5
	s_cmp_ge_u32 s28, s5
	s_cselect_b32 s29, s30, s29
	s_cselect_b32 s28, s31, s28
	s_add_i32 s30, s29, 1
	s_cmp_ge_u32 s28, s5
	s_cselect_b32 s5, s30, s29
	s_xor_b32 s5, s5, s27
	s_sub_i32 s5, s5, s27
	s_cmp_gt_i32 s24, 0
	s_cselect_b64 s[48:49], -1, 0
	s_cmp_gt_i32 s25, 0
	s_load_dword s40, s[2:3], 0x0
	s_load_dword s27, s[0:1], 0x7c
	s_load_dwordx2 s[46:47], s[0:1], 0x0
	s_load_dwordx4 s[28:31], s[0:1], 0x1c
	s_cselect_b64 s[50:51], -1, 0
	s_cmp_gt_i32 s26, 0
	s_mul_i32 s2, s19, s15
	s_mul_i32 s3, s26, s44
	s_cselect_b64 s[52:53], -1, 0
	s_sub_i32 s54, s2, s3
	s_mul_i32 s2, s18, s14
	s_mul_i32 s3, s25, s15
	s_sub_i32 s2, s2, s3
	s_mul_i32 s56, s2, s19
	s_ashr_i32 s45, s44, 31
	s_ashr_i32 s55, s54, 31
	;; [unrolled: 1-line block ×3, first 2 shown]
	s_cmp_lg_u64 s[42:43], 0
	s_cselect_b64 s[58:59], -1, 0
	s_abs_i32 s33, s6
	v_cvt_f32_u32_e32 v2, s33
	s_abs_i32 s71, s23
	v_cvt_f32_u32_e32 v3, s71
	s_load_dword s70, s[0:1], 0x2c
	s_load_dwordx2 s[60:61], s[0:1], 0x30
	v_rcp_iflag_f32_e32 v2, v2
	s_load_dwordx2 s[64:65], s[0:1], 0x60
	s_load_dwordx4 s[36:39], s[0:1], 0x50
	v_rcp_iflag_f32_e32 v3, v3
	s_sub_i32 s0, 0, s33
	v_mul_f32_e32 v2, 0x4f7ffffe, v2
	v_cvt_u32_f32_e32 v2, v2
	s_abs_i32 s73, s22
	s_abs_i32 s76, s5
	v_cvt_f32_u32_e32 v5, s76
	v_mul_lo_u32 v4, s0, v2
	v_mul_hi_u32 v4, v2, v4
	v_add_u32_e32 v8, v2, v4
	v_mul_f32_e32 v2, 0x4f7ffffe, v3
	v_cvt_f32_u32_e32 v3, s73
	v_cvt_u32_f32_e32 v2, v2
	s_sub_i32 s0, 0, s71
	s_mov_b32 s41, 0
	v_rcp_iflag_f32_e32 v3, v3
	v_mul_lo_u32 v4, s0, v2
	v_mul_hi_u32 v4, v2, v4
	v_add_u32_e32 v9, v2, v4
	v_mul_f32_e32 v2, 0x4f7ffffe, v3
	v_cvt_u32_f32_e32 v2, v2
	v_cvt_f32_u32_e32 v3, s16
	s_sub_i32 s0, 0, s73
	s_mov_b64 s[62:63], 0
	v_mul_lo_u32 v4, s0, v2
	v_rcp_iflag_f32_e32 v3, v3
	v_mul_hi_u32 v4, v2, v4
	v_add_u32_e32 v10, v2, v4
	v_rcp_iflag_f32_e32 v2, v5
	v_mul_f32_e32 v3, 0x4f7ffffe, v3
	v_cvt_u32_f32_e32 v3, v3
	s_sub_i32 s0, 0, s16
	v_mul_f32_e32 v2, 0x4f7ffffe, v2
	v_cvt_u32_f32_e32 v2, v2
	v_mul_lo_u32 v4, s0, v3
	v_mul_hi_u32 v4, v3, v4
	s_sub_i32 s0, 0, s76
	v_add_u32_e32 v11, v3, v4
	v_mul_lo_u32 v3, s0, v2
	v_mul_hi_u32 v3, v2, v3
	s_waitcnt lgkmcnt(0)
	s_mul_i32 s40, s40, s4
	s_ashr_i32 s72, s6, 31
	s_ashr_i32 s74, s23, 31
	;; [unrolled: 1-line block ×4, first 2 shown]
	v_add_u32_e32 v12, v2, v3
	s_lshl_b64 s[66:67], s[44:45], 2
	s_branch .LBB5_3
.LBB5_2:                                ;   in Loop: Header=BB5_3 Depth=1
	v_mul_lo_u32 v4, v16, s7
	v_ashrrev_i32_e32 v5, 31, v4
	v_mul_lo_u32 v2, s36, v2
	v_lshl_add_u64 v[4:5], v[4:5], 2, s[60:61]
	v_ashrrev_i32_e32 v3, 31, v2
	v_lshl_add_u64 v[2:3], v[2:3], 2, v[4:5]
	v_mul_lo_u32 v4, s37, v15
	v_ashrrev_i32_e32 v5, 31, v4
	v_lshl_add_u64 v[2:3], v[4:5], 2, v[2:3]
	v_mul_lo_u32 v4, s38, v14
	;; [unrolled: 3-line block ×3, first 2 shown]
	v_lshl_add_u64 v[0:1], v[0:1], 0, s[40:41]
	v_ashrrev_i32_e32 v5, 31, v4
	v_cmp_le_i64_e32 vcc, s[34:35], v[0:1]
	v_lshl_add_u64 v[2:3], v[4:5], 2, v[2:3]
	s_or_b64 s[62:63], vcc, s[62:63]
	global_store_dword v[2:3], v18, off
	s_andn2_b64 exec, exec, s[62:63]
	s_cbranch_execz .LBB5_17
.LBB5_3:                                ; =>This Loop Header: Depth=1
                                        ;     Child Loop BB5_6 Depth 2
                                        ;       Child Loop BB5_9 Depth 3
                                        ;         Child Loop BB5_12 Depth 4
	v_sub_u32_e32 v3, 0, v0
	v_max_i32_e32 v3, v0, v3
	v_mul_hi_u32 v4, v3, v8
	v_mul_lo_u32 v5, v4, s33
	v_sub_u32_e32 v3, v3, v5
	v_add_u32_e32 v5, 1, v4
	v_cmp_le_u32_e32 vcc, s33, v3
	v_ashrrev_i32_e32 v2, 31, v0
	v_xor_b32_e32 v2, s72, v2
	v_cndmask_b32_e32 v4, v4, v5, vcc
	v_subrev_u32_e32 v5, s33, v3
	v_cndmask_b32_e32 v3, v3, v5, vcc
	v_add_u32_e32 v5, 1, v4
	v_cmp_le_u32_e32 vcc, s33, v3
	s_nop 1
	v_cndmask_b32_e32 v3, v4, v5, vcc
	v_xor_b32_e32 v3, v3, v2
	v_sub_u32_e32 v2, v3, v2
	v_sub_u32_e32 v4, 0, v2
	v_max_i32_e32 v4, v2, v4
	v_mul_hi_u32 v5, v4, v9
	v_mul_lo_u32 v6, v5, s71
	v_sub_u32_e32 v4, v4, v6
	v_add_u32_e32 v6, 1, v5
	v_cmp_le_u32_e32 vcc, s71, v4
	v_mul_lo_u32 v3, v2, s6
	v_sub_u32_e32 v13, v0, v3
	v_cndmask_b32_e32 v5, v5, v6, vcc
	v_subrev_u32_e32 v6, s71, v4
	v_cndmask_b32_e32 v4, v4, v6, vcc
	v_ashrrev_i32_e32 v3, 31, v2
	v_add_u32_e32 v6, 1, v5
	v_cmp_le_u32_e32 vcc, s71, v4
	v_xor_b32_e32 v3, s74, v3
	s_nop 0
	v_cndmask_b32_e32 v4, v5, v6, vcc
	v_xor_b32_e32 v4, v4, v3
	v_sub_u32_e32 v3, v4, v3
	v_mul_lo_u32 v4, v3, s23
	v_sub_u32_e32 v14, v2, v4
	v_sub_u32_e32 v4, 0, v3
	v_max_i32_e32 v4, v3, v4
	v_mul_hi_u32 v5, v4, v10
	v_mul_lo_u32 v6, v5, s73
	v_sub_u32_e32 v4, v4, v6
	v_add_u32_e32 v6, 1, v5
	v_cmp_le_u32_e32 vcc, s73, v4
	v_ashrrev_i32_e32 v2, 31, v3
	v_xor_b32_e32 v2, s75, v2
	v_cndmask_b32_e32 v5, v5, v6, vcc
	v_subrev_u32_e32 v6, s73, v4
	v_cndmask_b32_e32 v4, v4, v6, vcc
	v_add_u32_e32 v6, 1, v5
	v_cmp_le_u32_e32 vcc, s73, v4
	s_nop 1
	v_cndmask_b32_e32 v4, v5, v6, vcc
	v_xor_b32_e32 v4, v4, v2
	v_sub_u32_e32 v2, v4, v2
	v_mul_lo_u32 v4, v2, s22
	v_sub_u32_e32 v15, v3, v4
	v_sub_u32_e32 v4, 0, v2
	v_max_i32_e32 v4, v2, v4
	v_mul_hi_u32 v5, v4, v11
	v_mul_lo_u32 v6, v5, s16
	v_sub_u32_e32 v4, v4, v6
	v_add_u32_e32 v6, 1, v5
	v_cmp_le_u32_e32 vcc, s16, v4
	v_ashrrev_i32_e32 v3, 31, v2
	v_xor_b32_e32 v3, s20, v3
	v_cndmask_b32_e32 v5, v5, v6, vcc
	v_subrev_u32_e32 v6, s16, v4
	v_cndmask_b32_e32 v4, v4, v6, vcc
	v_add_u32_e32 v6, 1, v5
	v_cmp_le_u32_e32 vcc, s16, v4
	s_nop 1
	v_cndmask_b32_e32 v4, v5, v6, vcc
	v_xor_b32_e32 v4, v4, v3
	v_sub_u32_e32 v16, v4, v3
	v_mul_lo_u32 v3, v16, s21
	v_sub_u32_e32 v2, v2, v3
	s_andn2_b64 vcc, exec, s[48:49]
	v_ashrrev_i32_e32 v3, 31, v2
	s_cbranch_vccnz .LBB5_14
; %bb.4:                                ;   in Loop: Header=BB5_3 Depth=1
	v_sub_u32_e32 v7, 0, v2
	v_max_i32_e32 v7, v2, v7
	v_mul_hi_u32 v18, v7, v12
	v_mul_lo_u32 v21, v18, s76
	v_sub_u32_e32 v7, v7, v21
	v_add_u32_e32 v21, 1, v18
	v_cmp_le_u32_e32 vcc, s76, v7
	v_mul_lo_u32 v4, v13, s10
	v_subrev_u32_e32 v17, s13, v4
	v_cndmask_b32_e32 v18, v18, v21, vcc
	v_subrev_u32_e32 v21, s76, v7
	v_cndmask_b32_e32 v7, v7, v21, vcc
	v_add_u32_e32 v21, 1, v18
	v_cmp_le_u32_e32 vcc, s76, v7
	v_mul_lo_u32 v4, v14, s9
	v_xor_b32_e32 v6, s77, v3
	v_cndmask_b32_e32 v7, v18, v21, vcc
	v_subrev_u32_e32 v19, s12, v4
	v_mul_lo_u32 v4, v15, s8
	v_xor_b32_e32 v7, v7, v6
	v_subrev_u32_e32 v20, s11, v4
	v_mul_lo_u32 v4, s28, v16
	v_sub_u32_e32 v6, v7, v6
	v_ashrrev_i32_e32 v5, 31, v4
	v_mul_lo_u32 v6, s29, v6
	v_lshl_add_u64 v[4:5], v[4:5], 2, s[46:47]
	v_ashrrev_i32_e32 v7, 31, v6
	v_lshl_add_u64 v[4:5], v[6:7], 2, v[4:5]
	v_mul_lo_u32 v6, s30, v20
	v_ashrrev_i32_e32 v7, 31, v6
	v_lshl_add_u64 v[4:5], v[6:7], 2, v[4:5]
	v_mul_lo_u32 v6, s31, v19
	;; [unrolled: 3-line block ×4, first 2 shown]
	v_ashrrev_i32_e32 v7, 31, v6
	s_mov_b32 s45, 0
	v_lshl_add_u64 v[6:7], v[6:7], 2, s[64:65]
	v_mov_b32_e32 v18, 0
	s_branch .LBB5_6
.LBB5_5:                                ;   in Loop: Header=BB5_6 Depth=2
	s_add_i32 s45, s45, 1
	s_cmp_eq_u32 s45, s24
	v_lshl_add_u64 v[4:5], s[56:57], 2, v[4:5]
	s_cbranch_scc1 .LBB5_15
.LBB5_6:                                ;   Parent Loop BB5_3 Depth=1
                                        ; =>  This Loop Header: Depth=2
                                        ;       Child Loop BB5_9 Depth 3
                                        ;         Child Loop BB5_12 Depth 4
	s_andn2_b64 vcc, exec, s[50:51]
	s_cbranch_vccnz .LBB5_5
; %bb.7:                                ;   in Loop: Header=BB5_6 Depth=2
	s_mul_i32 s0, s45, s14
	v_add_u32_e32 v21, s0, v20
	v_cmp_lt_i32_e64 s[0:1], -1, v21
	v_cmp_gt_i32_e64 s[2:3], s17, v21
	s_mov_b32 s78, 0
	s_branch .LBB5_9
.LBB5_8:                                ;   in Loop: Header=BB5_9 Depth=3
	s_add_i32 s78, s78, 1
	s_cmp_eq_u32 s78, s25
	v_lshl_add_u64 v[4:5], s[54:55], 2, v[4:5]
	s_cbranch_scc1 .LBB5_5
.LBB5_9:                                ;   Parent Loop BB5_3 Depth=1
                                        ;     Parent Loop BB5_6 Depth=2
                                        ; =>    This Loop Header: Depth=3
                                        ;         Child Loop BB5_12 Depth 4
	s_andn2_b64 vcc, exec, s[52:53]
	s_cbranch_vccnz .LBB5_8
; %bb.10:                               ;   in Loop: Header=BB5_9 Depth=3
	s_mul_i32 s4, s78, s15
	v_add_u32_e32 v21, s4, v19
	v_cmp_lt_i32_e32 vcc, -1, v21
	s_and_b64 s[68:69], s[0:1], vcc
	v_cmp_gt_i32_e32 vcc, s18, v21
	v_mov_b32_e32 v21, v17
	s_mov_b32 s79, s26
	s_branch .LBB5_12
.LBB5_11:                               ;   in Loop: Header=BB5_12 Depth=4
	s_or_b64 exec, exec, s[4:5]
	s_add_i32 s79, s79, -1
	v_lshl_add_u64 v[6:7], v[6:7], 0, 4
	v_add_u32_e32 v21, s44, v21
	s_cmp_eq_u32 s79, 0
	v_lshl_add_u64 v[4:5], v[4:5], 0, s[66:67]
	s_cbranch_scc1 .LBB5_8
.LBB5_12:                               ;   Parent Loop BB5_3 Depth=1
                                        ;     Parent Loop BB5_6 Depth=2
                                        ;       Parent Loop BB5_9 Depth=3
                                        ; =>      This Inner Loop Header: Depth=4
	v_cmp_lt_i32_e64 s[4:5], -1, v21
	s_and_b64 s[4:5], s[68:69], s[4:5]
	s_and_b64 s[4:5], s[4:5], s[2:3]
	s_and_b64 s[80:81], s[4:5], vcc
	v_cmp_gt_i32_e64 s[4:5], s19, v21
	s_and_b64 s[80:81], s[80:81], s[4:5]
	s_and_saveexec_b64 s[4:5], s[80:81]
	s_cbranch_execz .LBB5_11
; %bb.13:                               ;   in Loop: Header=BB5_12 Depth=4
	global_load_dword v22, v[6:7], off
	global_load_dword v23, v[4:5], off
	s_waitcnt vmcnt(0)
	v_fmac_f32_e32 v18, v22, v23
	s_branch .LBB5_11
.LBB5_14:                               ;   in Loop: Header=BB5_3 Depth=1
	v_mov_b32_e32 v18, 0
.LBB5_15:                               ;   in Loop: Header=BB5_3 Depth=1
	s_and_b64 vcc, exec, s[58:59]
	s_cbranch_vccz .LBB5_2
; %bb.16:                               ;   in Loop: Header=BB5_3 Depth=1
	v_lshl_add_u64 v[4:5], v[2:3], 2, s[42:43]
	global_load_dword v3, v[4:5], off
	s_waitcnt vmcnt(0)
	v_add_f32_e32 v18, v18, v3
	s_branch .LBB5_2
.LBB5_17:
	s_endpgm
	.section	.rodata,"a",@progbits
	.p2align	6, 0x0
	.amdhsa_kernel _ZN2at6native12_GLOBAL__N_128conv_depthwise3d_cuda_kernelIffLin1ELin1ELin1ELin1ELin1ELin1EEEvN5torch10headeronly6detail27GenericPackedTensorAccessorINS5_14TensorAccessorIN3c108ArrayRefIlEEKT_Lm4ENS4_16DefaultPtrTraitsEiEENS_6detail16IndexBoundsCheckILm5EiEESC_Lm5ESD_iEENS6_INS7_ISA_SB_Lm4ESD_iEESH_SB_Lm5ESD_iEESI_PSC_iiiiiiiii
		.amdhsa_group_segment_fixed_size 0
		.amdhsa_private_segment_fixed_size 0
		.amdhsa_kernarg_size 448
		.amdhsa_user_sgpr_count 2
		.amdhsa_user_sgpr_dispatch_ptr 0
		.amdhsa_user_sgpr_queue_ptr 0
		.amdhsa_user_sgpr_kernarg_segment_ptr 1
		.amdhsa_user_sgpr_dispatch_id 0
		.amdhsa_user_sgpr_kernarg_preload_length 0
		.amdhsa_user_sgpr_kernarg_preload_offset 0
		.amdhsa_user_sgpr_private_segment_size 0
		.amdhsa_uses_dynamic_stack 0
		.amdhsa_enable_private_segment 0
		.amdhsa_system_sgpr_workgroup_id_x 1
		.amdhsa_system_sgpr_workgroup_id_y 0
		.amdhsa_system_sgpr_workgroup_id_z 0
		.amdhsa_system_sgpr_workgroup_info 0
		.amdhsa_system_vgpr_workitem_id 0
		.amdhsa_next_free_vgpr 24
		.amdhsa_next_free_sgpr 82
		.amdhsa_accum_offset 24
		.amdhsa_reserve_vcc 1
		.amdhsa_float_round_mode_32 0
		.amdhsa_float_round_mode_16_64 0
		.amdhsa_float_denorm_mode_32 3
		.amdhsa_float_denorm_mode_16_64 3
		.amdhsa_dx10_clamp 1
		.amdhsa_ieee_mode 1
		.amdhsa_fp16_overflow 0
		.amdhsa_tg_split 0
		.amdhsa_exception_fp_ieee_invalid_op 0
		.amdhsa_exception_fp_denorm_src 0
		.amdhsa_exception_fp_ieee_div_zero 0
		.amdhsa_exception_fp_ieee_overflow 0
		.amdhsa_exception_fp_ieee_underflow 0
		.amdhsa_exception_fp_ieee_inexact 0
		.amdhsa_exception_int_div_zero 0
	.end_amdhsa_kernel
	.section	.text._ZN2at6native12_GLOBAL__N_128conv_depthwise3d_cuda_kernelIffLin1ELin1ELin1ELin1ELin1ELin1EEEvN5torch10headeronly6detail27GenericPackedTensorAccessorINS5_14TensorAccessorIN3c108ArrayRefIlEEKT_Lm4ENS4_16DefaultPtrTraitsEiEENS_6detail16IndexBoundsCheckILm5EiEESC_Lm5ESD_iEENS6_INS7_ISA_SB_Lm4ESD_iEESH_SB_Lm5ESD_iEESI_PSC_iiiiiiiii,"axG",@progbits,_ZN2at6native12_GLOBAL__N_128conv_depthwise3d_cuda_kernelIffLin1ELin1ELin1ELin1ELin1ELin1EEEvN5torch10headeronly6detail27GenericPackedTensorAccessorINS5_14TensorAccessorIN3c108ArrayRefIlEEKT_Lm4ENS4_16DefaultPtrTraitsEiEENS_6detail16IndexBoundsCheckILm5EiEESC_Lm5ESD_iEENS6_INS7_ISA_SB_Lm4ESD_iEESH_SB_Lm5ESD_iEESI_PSC_iiiiiiiii,comdat
.Lfunc_end5:
	.size	_ZN2at6native12_GLOBAL__N_128conv_depthwise3d_cuda_kernelIffLin1ELin1ELin1ELin1ELin1ELin1EEEvN5torch10headeronly6detail27GenericPackedTensorAccessorINS5_14TensorAccessorIN3c108ArrayRefIlEEKT_Lm4ENS4_16DefaultPtrTraitsEiEENS_6detail16IndexBoundsCheckILm5EiEESC_Lm5ESD_iEENS6_INS7_ISA_SB_Lm4ESD_iEESH_SB_Lm5ESD_iEESI_PSC_iiiiiiiii, .Lfunc_end5-_ZN2at6native12_GLOBAL__N_128conv_depthwise3d_cuda_kernelIffLin1ELin1ELin1ELin1ELin1ELin1EEEvN5torch10headeronly6detail27GenericPackedTensorAccessorINS5_14TensorAccessorIN3c108ArrayRefIlEEKT_Lm4ENS4_16DefaultPtrTraitsEiEENS_6detail16IndexBoundsCheckILm5EiEESC_Lm5ESD_iEENS6_INS7_ISA_SB_Lm4ESD_iEESH_SB_Lm5ESD_iEESI_PSC_iiiiiiiii
                                        ; -- End function
	.set _ZN2at6native12_GLOBAL__N_128conv_depthwise3d_cuda_kernelIffLin1ELin1ELin1ELin1ELin1ELin1EEEvN5torch10headeronly6detail27GenericPackedTensorAccessorINS5_14TensorAccessorIN3c108ArrayRefIlEEKT_Lm4ENS4_16DefaultPtrTraitsEiEENS_6detail16IndexBoundsCheckILm5EiEESC_Lm5ESD_iEENS6_INS7_ISA_SB_Lm4ESD_iEESH_SB_Lm5ESD_iEESI_PSC_iiiiiiiii.num_vgpr, 24
	.set _ZN2at6native12_GLOBAL__N_128conv_depthwise3d_cuda_kernelIffLin1ELin1ELin1ELin1ELin1ELin1EEEvN5torch10headeronly6detail27GenericPackedTensorAccessorINS5_14TensorAccessorIN3c108ArrayRefIlEEKT_Lm4ENS4_16DefaultPtrTraitsEiEENS_6detail16IndexBoundsCheckILm5EiEESC_Lm5ESD_iEENS6_INS7_ISA_SB_Lm4ESD_iEESH_SB_Lm5ESD_iEESI_PSC_iiiiiiiii.num_agpr, 0
	.set _ZN2at6native12_GLOBAL__N_128conv_depthwise3d_cuda_kernelIffLin1ELin1ELin1ELin1ELin1ELin1EEEvN5torch10headeronly6detail27GenericPackedTensorAccessorINS5_14TensorAccessorIN3c108ArrayRefIlEEKT_Lm4ENS4_16DefaultPtrTraitsEiEENS_6detail16IndexBoundsCheckILm5EiEESC_Lm5ESD_iEENS6_INS7_ISA_SB_Lm4ESD_iEESH_SB_Lm5ESD_iEESI_PSC_iiiiiiiii.numbered_sgpr, 82
	.set _ZN2at6native12_GLOBAL__N_128conv_depthwise3d_cuda_kernelIffLin1ELin1ELin1ELin1ELin1ELin1EEEvN5torch10headeronly6detail27GenericPackedTensorAccessorINS5_14TensorAccessorIN3c108ArrayRefIlEEKT_Lm4ENS4_16DefaultPtrTraitsEiEENS_6detail16IndexBoundsCheckILm5EiEESC_Lm5ESD_iEENS6_INS7_ISA_SB_Lm4ESD_iEESH_SB_Lm5ESD_iEESI_PSC_iiiiiiiii.num_named_barrier, 0
	.set _ZN2at6native12_GLOBAL__N_128conv_depthwise3d_cuda_kernelIffLin1ELin1ELin1ELin1ELin1ELin1EEEvN5torch10headeronly6detail27GenericPackedTensorAccessorINS5_14TensorAccessorIN3c108ArrayRefIlEEKT_Lm4ENS4_16DefaultPtrTraitsEiEENS_6detail16IndexBoundsCheckILm5EiEESC_Lm5ESD_iEENS6_INS7_ISA_SB_Lm4ESD_iEESH_SB_Lm5ESD_iEESI_PSC_iiiiiiiii.private_seg_size, 0
	.set _ZN2at6native12_GLOBAL__N_128conv_depthwise3d_cuda_kernelIffLin1ELin1ELin1ELin1ELin1ELin1EEEvN5torch10headeronly6detail27GenericPackedTensorAccessorINS5_14TensorAccessorIN3c108ArrayRefIlEEKT_Lm4ENS4_16DefaultPtrTraitsEiEENS_6detail16IndexBoundsCheckILm5EiEESC_Lm5ESD_iEENS6_INS7_ISA_SB_Lm4ESD_iEESH_SB_Lm5ESD_iEESI_PSC_iiiiiiiii.uses_vcc, 1
	.set _ZN2at6native12_GLOBAL__N_128conv_depthwise3d_cuda_kernelIffLin1ELin1ELin1ELin1ELin1ELin1EEEvN5torch10headeronly6detail27GenericPackedTensorAccessorINS5_14TensorAccessorIN3c108ArrayRefIlEEKT_Lm4ENS4_16DefaultPtrTraitsEiEENS_6detail16IndexBoundsCheckILm5EiEESC_Lm5ESD_iEENS6_INS7_ISA_SB_Lm4ESD_iEESH_SB_Lm5ESD_iEESI_PSC_iiiiiiiii.uses_flat_scratch, 0
	.set _ZN2at6native12_GLOBAL__N_128conv_depthwise3d_cuda_kernelIffLin1ELin1ELin1ELin1ELin1ELin1EEEvN5torch10headeronly6detail27GenericPackedTensorAccessorINS5_14TensorAccessorIN3c108ArrayRefIlEEKT_Lm4ENS4_16DefaultPtrTraitsEiEENS_6detail16IndexBoundsCheckILm5EiEESC_Lm5ESD_iEENS6_INS7_ISA_SB_Lm4ESD_iEESH_SB_Lm5ESD_iEESI_PSC_iiiiiiiii.has_dyn_sized_stack, 0
	.set _ZN2at6native12_GLOBAL__N_128conv_depthwise3d_cuda_kernelIffLin1ELin1ELin1ELin1ELin1ELin1EEEvN5torch10headeronly6detail27GenericPackedTensorAccessorINS5_14TensorAccessorIN3c108ArrayRefIlEEKT_Lm4ENS4_16DefaultPtrTraitsEiEENS_6detail16IndexBoundsCheckILm5EiEESC_Lm5ESD_iEENS6_INS7_ISA_SB_Lm4ESD_iEESH_SB_Lm5ESD_iEESI_PSC_iiiiiiiii.has_recursion, 0
	.set _ZN2at6native12_GLOBAL__N_128conv_depthwise3d_cuda_kernelIffLin1ELin1ELin1ELin1ELin1ELin1EEEvN5torch10headeronly6detail27GenericPackedTensorAccessorINS5_14TensorAccessorIN3c108ArrayRefIlEEKT_Lm4ENS4_16DefaultPtrTraitsEiEENS_6detail16IndexBoundsCheckILm5EiEESC_Lm5ESD_iEENS6_INS7_ISA_SB_Lm4ESD_iEESH_SB_Lm5ESD_iEESI_PSC_iiiiiiiii.has_indirect_call, 0
	.section	.AMDGPU.csdata,"",@progbits
; Kernel info:
; codeLenInByte = 1672
; TotalNumSgprs: 88
; NumVgprs: 24
; NumAgprs: 0
; TotalNumVgprs: 24
; ScratchSize: 0
; MemoryBound: 0
; FloatMode: 240
; IeeeMode: 1
; LDSByteSize: 0 bytes/workgroup (compile time only)
; SGPRBlocks: 10
; VGPRBlocks: 2
; NumSGPRsForWavesPerEU: 88
; NumVGPRsForWavesPerEU: 24
; AccumOffset: 24
; Occupancy: 8
; WaveLimiterHint : 0
; COMPUTE_PGM_RSRC2:SCRATCH_EN: 0
; COMPUTE_PGM_RSRC2:USER_SGPR: 2
; COMPUTE_PGM_RSRC2:TRAP_HANDLER: 0
; COMPUTE_PGM_RSRC2:TGID_X_EN: 1
; COMPUTE_PGM_RSRC2:TGID_Y_EN: 0
; COMPUTE_PGM_RSRC2:TGID_Z_EN: 0
; COMPUTE_PGM_RSRC2:TIDIG_COMP_CNT: 0
; COMPUTE_PGM_RSRC3_GFX90A:ACCUM_OFFSET: 5
; COMPUTE_PGM_RSRC3_GFX90A:TG_SPLIT: 0
	.section	.text._ZN2at6native12_GLOBAL__N_128conv_depthwise3d_cuda_kernelIN3c104HalfEfLi3ELi3ELi3ELi1ELi1ELi1EEEvN5torch10headeronly6detail27GenericPackedTensorAccessorINS7_14TensorAccessorINS3_8ArrayRefIlEEKT_Lm4ENS6_16DefaultPtrTraitsEiEENS_6detail16IndexBoundsCheckILm5EiEESD_Lm5ESE_iEENS8_INS9_ISB_SC_Lm4ESE_iEESI_SC_Lm5ESE_iEESJ_PSD_iiiiiiiii,"axG",@progbits,_ZN2at6native12_GLOBAL__N_128conv_depthwise3d_cuda_kernelIN3c104HalfEfLi3ELi3ELi3ELi1ELi1ELi1EEEvN5torch10headeronly6detail27GenericPackedTensorAccessorINS7_14TensorAccessorINS3_8ArrayRefIlEEKT_Lm4ENS6_16DefaultPtrTraitsEiEENS_6detail16IndexBoundsCheckILm5EiEESD_Lm5ESE_iEENS8_INS9_ISB_SC_Lm4ESE_iEESI_SC_Lm5ESE_iEESJ_PSD_iiiiiiiii,comdat
	.globl	_ZN2at6native12_GLOBAL__N_128conv_depthwise3d_cuda_kernelIN3c104HalfEfLi3ELi3ELi3ELi1ELi1ELi1EEEvN5torch10headeronly6detail27GenericPackedTensorAccessorINS7_14TensorAccessorINS3_8ArrayRefIlEEKT_Lm4ENS6_16DefaultPtrTraitsEiEENS_6detail16IndexBoundsCheckILm5EiEESD_Lm5ESE_iEENS8_INS9_ISB_SC_Lm4ESE_iEESI_SC_Lm5ESE_iEESJ_PSD_iiiiiiiii ; -- Begin function _ZN2at6native12_GLOBAL__N_128conv_depthwise3d_cuda_kernelIN3c104HalfEfLi3ELi3ELi3ELi1ELi1ELi1EEEvN5torch10headeronly6detail27GenericPackedTensorAccessorINS7_14TensorAccessorINS3_8ArrayRefIlEEKT_Lm4ENS6_16DefaultPtrTraitsEiEENS_6detail16IndexBoundsCheckILm5EiEESD_Lm5ESE_iEENS8_INS9_ISB_SC_Lm4ESE_iEESI_SC_Lm5ESE_iEESJ_PSD_iiiiiiiii
	.p2align	8
	.type	_ZN2at6native12_GLOBAL__N_128conv_depthwise3d_cuda_kernelIN3c104HalfEfLi3ELi3ELi3ELi1ELi1ELi1EEEvN5torch10headeronly6detail27GenericPackedTensorAccessorINS7_14TensorAccessorINS3_8ArrayRefIlEEKT_Lm4ENS6_16DefaultPtrTraitsEiEENS_6detail16IndexBoundsCheckILm5EiEESD_Lm5ESE_iEENS8_INS9_ISB_SC_Lm4ESE_iEESI_SC_Lm5ESE_iEESJ_PSD_iiiiiiiii,@function
_ZN2at6native12_GLOBAL__N_128conv_depthwise3d_cuda_kernelIN3c104HalfEfLi3ELi3ELi3ELi1ELi1ELi1EEEvN5torch10headeronly6detail27GenericPackedTensorAccessorINS7_14TensorAccessorINS3_8ArrayRefIlEEKT_Lm4ENS6_16DefaultPtrTraitsEiEENS_6detail16IndexBoundsCheckILm5EiEESD_Lm5ESE_iEENS8_INS9_ISB_SC_Lm4ESE_iEESI_SC_Lm5ESE_iEESJ_PSD_iiiiiiiii: ; @_ZN2at6native12_GLOBAL__N_128conv_depthwise3d_cuda_kernelIN3c104HalfEfLi3ELi3ELi3ELi1ELi1ELi1EEEvN5torch10headeronly6detail27GenericPackedTensorAccessorINS7_14TensorAccessorINS3_8ArrayRefIlEEKT_Lm4ENS6_16DefaultPtrTraitsEiEENS_6detail16IndexBoundsCheckILm5EiEESD_Lm5ESE_iEENS8_INS9_ISB_SC_Lm4ESE_iEESI_SC_Lm5ESE_iEESJ_PSD_iiiiiiiii
; %bb.0:
	s_load_dwordx4 s[28:31], s[0:1], 0xc
	s_load_dwordx4 s[36:39], s[0:1], 0x38
	s_load_dwordx2 s[26:27], s[0:1], 0x48
	s_load_dword s3, s[0:1], 0xcc
	v_mov_b32_e32 v1, 0
	s_waitcnt lgkmcnt(0)
	s_abs_i32 s6, s28
	v_cvt_f32_u32_e32 v2, s6
	s_add_u32 s4, s0, 0xc0
	v_mov_b32_e32 v3, s2
	s_mul_i32 s34, s27, s36
	v_rcp_iflag_f32_e32 v2, v2
	s_addc_u32 s5, s1, 0
	s_and_b32 s3, s3, 0xffff
	s_ashr_i32 s35, s34, 31
	v_mul_f32_e32 v2, 0x4f7ffffe, v2
	v_cvt_u32_f32_e32 v4, v2
	v_mad_u64_u32 v[2:3], s[8:9], s3, v3, v[0:1]
	v_cmp_gt_i64_e32 vcc, s[34:35], v[2:3]
	v_readfirstlane_b32 s7, v4
	s_and_saveexec_b64 s[8:9], vcc
	s_cbranch_execz .LBB6_59
; %bb.1:
	s_sub_i32 s9, 0, s6
	s_mul_i32 s9, s9, s7
	s_mul_hi_u32 s9, s7, s9
	s_ashr_i32 s8, s28, 31
	s_abs_i32 s28, s37
	s_add_i32 s7, s7, s9
	s_ashr_i32 s33, s37, 31
	s_mul_hi_u32 s7, s28, s7
	s_mul_hi_u32 s55, s3, s2
	s_mul_i32 s54, s3, s2
	s_xor_b32 s2, s33, s8
	s_mul_i32 s8, s7, s6
	s_sub_i32 s8, s28, s8
	s_add_i32 s9, s7, 1
	s_sub_i32 s10, s8, s6
	s_cmp_ge_u32 s8, s6
	s_cselect_b32 s7, s9, s7
	s_cselect_b32 s8, s10, s8
	s_add_i32 s9, s7, 1
	s_cmp_ge_u32 s8, s6
	s_cselect_b32 s6, s9, s7
	s_xor_b32 s6, s6, s2
	s_load_dwordx4 s[40:43], s[0:1], 0x98
	s_load_dwordx2 s[56:57], s[0:1], 0xa8
	s_sub_i32 s2, s6, s2
	s_load_dword s6, s[4:5], 0x0
	s_load_dwordx2 s[58:59], s[0:1], 0x90
	s_load_dword s36, s[0:1], 0x7c
	s_load_dwordx2 s[60:61], s[0:1], 0x0
	s_load_dwordx4 s[44:47], s[0:1], 0x1c
	s_add_i32 s4, s30, -3
	s_mul_i32 s64, s31, s4
	s_ashr_i32 s63, s31, 31
	s_ashr_i32 s65, s64, 31
	s_waitcnt lgkmcnt(0)
	s_cmp_lg_u64 s[58:59], 0
	s_cselect_b64 s[66:67], -1, 0
	s_abs_i32 s78, s26
	v_cvt_f32_u32_e32 v2, s78
	s_abs_i32 s80, s39
	v_cvt_f32_u32_e32 v3, s80
	s_load_dword s79, s[0:1], 0x2c
	s_load_dwordx2 s[68:69], s[0:1], 0x30
	v_rcp_iflag_f32_e32 v2, v2
	s_load_dwordx2 s[72:73], s[0:1], 0x60
	s_load_dwordx4 s[48:51], s[0:1], 0x50
	v_rcp_iflag_f32_e32 v3, v3
	s_sub_i32 s0, 0, s78
	v_mul_f32_e32 v2, 0x4f7ffffe, v2
	v_cvt_u32_f32_e32 v2, v2
	s_abs_i32 s82, s38
	s_abs_i32 s85, s2
	v_cvt_f32_u32_e32 v5, s85
	v_mul_lo_u32 v4, s0, v2
	v_mul_hi_u32 v4, v2, v4
	v_add_u32_e32 v8, v2, v4
	v_mul_f32_e32 v2, 0x4f7ffffe, v3
	v_cvt_f32_u32_e32 v3, s82
	v_cvt_u32_f32_e32 v2, v2
	s_sub_i32 s0, 0, s80
	s_mov_b32 s53, 0
	v_rcp_iflag_f32_e32 v3, v3
	v_mul_lo_u32 v4, s0, v2
	v_mul_hi_u32 v4, v2, v4
	v_add_u32_e32 v9, v2, v4
	v_mul_f32_e32 v2, 0x4f7ffffe, v3
	v_cvt_u32_f32_e32 v2, v2
	v_cvt_f32_u32_e32 v3, s28
	s_sub_i32 s0, 0, s82
	s_mov_b32 s62, s31
	v_mul_lo_u32 v4, s0, v2
	v_rcp_iflag_f32_e32 v3, v3
	v_mul_hi_u32 v4, v2, v4
	v_add_u32_e32 v10, v2, v4
	v_rcp_iflag_f32_e32 v2, v5
	v_mul_f32_e32 v3, 0x4f7ffffe, v3
	v_cvt_u32_f32_e32 v3, v3
	s_sub_i32 s0, 0, s28
	v_mul_f32_e32 v2, 0x4f7ffffe, v2
	v_cvt_u32_f32_e32 v2, v2
	v_mul_lo_u32 v4, s0, v3
	v_mul_hi_u32 v4, v3, v4
	s_sub_i32 s0, 0, s85
	v_add_u32_e32 v11, v3, v4
	v_mul_lo_u32 v3, s0, v2
	v_mul_hi_u32 v3, v2, v3
	s_mov_b64 s[70:71], 0
	s_mul_i32 s52, s6, s3
	s_ashr_i32 s81, s26, 31
	s_ashr_i32 s83, s39, 31
	;; [unrolled: 1-line block ×4, first 2 shown]
	v_add_u32_e32 v12, v2, v3
	s_branch .LBB6_3
.LBB6_2:                                ;   in Loop: Header=BB6_3 Depth=1
	v_mul_lo_u32 v4, v16, s27
	v_ashrrev_i32_e32 v5, 31, v4
	v_mul_lo_u32 v2, s48, v2
	v_lshl_add_u64 v[4:5], v[4:5], 1, s[68:69]
	v_ashrrev_i32_e32 v3, 31, v2
	v_lshl_add_u64 v[2:3], v[2:3], 1, v[4:5]
	v_mul_lo_u32 v4, s49, v15
	v_ashrrev_i32_e32 v5, 31, v4
	v_lshl_add_u64 v[2:3], v[4:5], 1, v[2:3]
	v_mul_lo_u32 v4, s50, v14
	;; [unrolled: 3-line block ×3, first 2 shown]
	v_cvt_f16_f32_e32 v6, v17
	v_ashrrev_i32_e32 v5, 31, v4
	v_lshl_add_u64 v[0:1], v[0:1], 0, s[52:53]
	v_lshl_add_u64 v[2:3], v[4:5], 1, v[2:3]
	;; [unrolled: 1-line block ×3, first 2 shown]
	v_cmp_le_i64_e32 vcc, s[34:35], v[4:5]
	s_or_b64 s[70:71], vcc, s[70:71]
	global_store_short v[2:3], v6, off
	s_andn2_b64 exec, exec, s[70:71]
	s_cbranch_execz .LBB6_59
.LBB6_3:                                ; =>This Inner Loop Header: Depth=1
	v_add_u32_e32 v2, s54, v0
	v_sub_u32_e32 v4, 0, v2
	v_max_i32_e32 v4, v2, v4
	v_mul_hi_u32 v5, v4, v8
	v_mul_lo_u32 v6, v5, s78
	v_sub_u32_e32 v4, v4, v6
	v_add_u32_e32 v6, 1, v5
	v_cmp_le_u32_e32 vcc, s78, v4
	v_ashrrev_i32_e32 v3, 31, v2
	v_xor_b32_e32 v3, s81, v3
	v_cndmask_b32_e32 v5, v5, v6, vcc
	v_subrev_u32_e32 v6, s78, v4
	v_cndmask_b32_e32 v4, v4, v6, vcc
	v_add_u32_e32 v6, 1, v5
	v_cmp_le_u32_e32 vcc, s78, v4
	s_nop 1
	v_cndmask_b32_e32 v4, v5, v6, vcc
	v_xor_b32_e32 v4, v4, v3
	v_sub_u32_e32 v3, v4, v3
	v_mul_lo_u32 v4, v3, s26
	v_sub_u32_e32 v13, v2, v4
	v_sub_u32_e32 v4, 0, v3
	v_max_i32_e32 v4, v3, v4
	v_mul_hi_u32 v5, v4, v9
	v_mul_lo_u32 v6, v5, s80
	v_sub_u32_e32 v4, v4, v6
	v_add_u32_e32 v6, 1, v5
	v_cmp_le_u32_e32 vcc, s80, v4
	v_ashrrev_i32_e32 v2, 31, v3
	v_xor_b32_e32 v2, s83, v2
	v_cndmask_b32_e32 v5, v5, v6, vcc
	v_subrev_u32_e32 v6, s80, v4
	v_cndmask_b32_e32 v4, v4, v6, vcc
	v_add_u32_e32 v6, 1, v5
	v_cmp_le_u32_e32 vcc, s80, v4
	s_nop 1
	v_cndmask_b32_e32 v4, v5, v6, vcc
	v_xor_b32_e32 v4, v4, v2
	v_sub_u32_e32 v2, v4, v2
	v_mul_lo_u32 v4, v2, s39
	v_sub_u32_e32 v14, v3, v4
	;; [unrolled: 20-line block ×4, first 2 shown]
	v_sub_u32_e32 v5, 0, v2
	v_max_i32_e32 v5, v2, v5
	v_mul_hi_u32 v6, v5, v12
	v_mul_lo_u32 v7, v6, s85
	v_sub_u32_e32 v5, v5, v7
	v_add_u32_e32 v7, 1, v6
	v_cmp_le_u32_e32 vcc, s85, v5
	v_ashrrev_i32_e32 v3, 31, v2
	v_xor_b32_e32 v4, s86, v3
	v_cndmask_b32_e32 v6, v6, v7, vcc
	v_subrev_u32_e32 v7, s85, v5
	v_cndmask_b32_e32 v5, v5, v7, vcc
	v_add_u32_e32 v7, 1, v6
	v_cmp_le_u32_e32 vcc, s85, v5
	s_nop 1
	v_cndmask_b32_e32 v5, v6, v7, vcc
	v_xor_b32_e32 v5, v5, v4
	v_sub_u32_e32 v17, v5, v4
	v_mul_lo_u32 v4, v13, s42
	v_subrev_u32_e32 v20, s57, v4
	v_mul_lo_u32 v4, v14, s41
	v_mul_lo_u32 v6, s44, v16
	v_subrev_u32_e32 v19, s56, v4
	v_mul_lo_u32 v4, v15, s40
	v_ashrrev_i32_e32 v7, 31, v6
	v_mul_lo_u32 v22, s45, v17
	v_subrev_u32_e32 v18, s43, v4
	v_lshl_add_u64 v[6:7], v[6:7], 1, s[60:61]
	v_ashrrev_i32_e32 v23, 31, v22
	v_lshl_add_u64 v[6:7], v[22:23], 1, v[6:7]
	v_mul_lo_u32 v22, s46, v18
	v_ashrrev_i32_e32 v23, 31, v22
	v_or_b32_e32 v17, v18, v19
	v_lshl_add_u64 v[6:7], v[22:23], 1, v[6:7]
	v_mul_lo_u32 v22, s47, v19
	v_cmp_lt_i32_e64 s[8:9], -1, v17
	v_or_b32_e32 v17, v17, v20
	v_ashrrev_i32_e32 v23, 31, v22
	v_cmp_gt_i32_e64 s[22:23], s29, v18
	v_cmp_lt_i32_e64 s[0:1], -1, v17
	v_mul_lo_u32 v4, s36, v2
	v_lshl_add_u64 v[6:7], v[22:23], 1, v[6:7]
	s_waitcnt lgkmcnt(0)
	v_mul_lo_u32 v22, s79, v20
	v_cmp_gt_i32_e64 s[10:11], s30, v19
	s_and_b64 s[0:1], s[0:1], s[22:23]
	v_ashrrev_i32_e32 v5, 31, v4
	v_ashrrev_i32_e32 v23, 31, v22
	s_and_b64 s[2:3], s[0:1], s[10:11]
	v_cmp_gt_i32_e64 s[0:1], s31, v20
	v_lshl_add_u64 v[4:5], v[4:5], 1, s[72:73]
	v_lshl_add_u64 v[6:7], v[22:23], 1, v[6:7]
	v_cmp_lt_i32_e64 s[14:15], -1, v18
	v_cmp_lt_i32_e64 s[16:17], -1, v19
	v_cmp_lt_i32_e32 vcc, -1, v20
	s_and_b64 s[4:5], s[2:3], s[0:1]
	v_mov_b32_e32 v17, 0
	s_and_saveexec_b64 s[2:3], s[4:5]
	s_cbranch_execz .LBB6_5
; %bb.4:                                ;   in Loop: Header=BB6_3 Depth=1
	global_load_ushort v17, v[4:5], off
	global_load_ushort v21, v[6:7], off
	s_waitcnt vmcnt(0)
	v_fma_mix_f32 v17, v17, v21, 0 op_sel_hi:[1,1,0]
.LBB6_5:                                ;   in Loop: Header=BB6_3 Depth=1
	s_or_b64 exec, exec, s[2:3]
	v_cmp_lt_i32_e64 s[2:3], -2, v20
	s_and_b64 s[4:5], s[8:9], s[2:3]
	v_add_u32_e32 v21, 1, v20
	s_and_b64 s[4:5], s[4:5], s[22:23]
	s_and_b64 s[6:7], s[4:5], s[10:11]
	v_cmp_gt_i32_e64 s[4:5], s31, v21
	s_and_b64 s[12:13], s[6:7], s[4:5]
	s_and_saveexec_b64 s[6:7], s[12:13]
	s_cbranch_execz .LBB6_7
; %bb.6:                                ;   in Loop: Header=BB6_3 Depth=1
	global_load_ushort v21, v[4:5], off offset:2
	global_load_ushort v22, v[6:7], off offset:2
	s_waitcnt vmcnt(0)
	v_fma_mix_f32 v17, v21, v22, v17 op_sel_hi:[1,1,0]
.LBB6_7:                                ;   in Loop: Header=BB6_3 Depth=1
	s_or_b64 exec, exec, s[6:7]
	v_cmp_lt_i32_e64 s[6:7], -3, v20
	s_and_b64 s[8:9], s[8:9], s[6:7]
	v_add_u32_e32 v21, 2, v20
	s_and_b64 s[8:9], s[8:9], s[22:23]
	s_and_b64 s[12:13], s[8:9], s[10:11]
	v_cmp_gt_i32_e64 s[8:9], s31, v21
	s_and_b64 s[18:19], s[12:13], s[8:9]
	s_and_saveexec_b64 s[12:13], s[18:19]
	s_cbranch_execz .LBB6_9
; %bb.8:                                ;   in Loop: Header=BB6_3 Depth=1
	global_load_ushort v20, v[4:5], off offset:4
	global_load_ushort v21, v[6:7], off offset:4
	s_waitcnt vmcnt(0)
	v_fma_mix_f32 v17, v20, v21, v17 op_sel_hi:[1,1,0]
.LBB6_9:                                ;   in Loop: Header=BB6_3 Depth=1
	s_or_b64 exec, exec, s[12:13]
	v_cmp_lt_i32_e64 s[18:19], -2, v19
	s_and_b64 s[20:21], s[14:15], s[18:19]
	v_add_u32_e32 v20, 1, v19
	s_and_b64 s[24:25], s[20:21], vcc
	v_cmp_gt_i32_e64 s[12:13], s30, v20
	s_and_b64 s[24:25], s[24:25], s[22:23]
	s_and_b64 s[24:25], s[24:25], s[12:13]
	v_lshl_add_u64 v[6:7], s[62:63], 1, v[6:7]
	s_and_b64 s[74:75], s[24:25], s[0:1]
	s_and_saveexec_b64 s[24:25], s[74:75]
	s_cbranch_execz .LBB6_11
; %bb.10:                               ;   in Loop: Header=BB6_3 Depth=1
	global_load_ushort v20, v[4:5], off offset:6
	global_load_ushort v21, v[6:7], off
	s_waitcnt vmcnt(0)
	v_fma_mix_f32 v17, v20, v21, v17 op_sel_hi:[1,1,0]
.LBB6_11:                               ;   in Loop: Header=BB6_3 Depth=1
	s_or_b64 exec, exec, s[24:25]
	s_and_b64 s[24:25], s[20:21], s[2:3]
	s_and_b64 s[24:25], s[24:25], s[22:23]
	s_and_b64 s[24:25], s[24:25], s[12:13]
	s_and_b64 s[74:75], s[24:25], s[4:5]
	s_and_saveexec_b64 s[24:25], s[74:75]
	s_cbranch_execz .LBB6_13
; %bb.12:                               ;   in Loop: Header=BB6_3 Depth=1
	global_load_ushort v20, v[4:5], off offset:8
	global_load_ushort v21, v[6:7], off offset:2
	s_waitcnt vmcnt(0)
	v_fma_mix_f32 v17, v20, v21, v17 op_sel_hi:[1,1,0]
.LBB6_13:                               ;   in Loop: Header=BB6_3 Depth=1
	s_or_b64 exec, exec, s[24:25]
	s_and_b64 s[20:21], s[20:21], s[6:7]
	s_and_b64 s[20:21], s[20:21], s[22:23]
	;; [unrolled: 1-line block ×4, first 2 shown]
	s_and_saveexec_b64 s[20:21], s[24:25]
	s_cbranch_execz .LBB6_15
; %bb.14:                               ;   in Loop: Header=BB6_3 Depth=1
	global_load_ushort v20, v[4:5], off offset:10
	global_load_ushort v21, v[6:7], off offset:4
	s_waitcnt vmcnt(0)
	v_fma_mix_f32 v17, v20, v21, v17 op_sel_hi:[1,1,0]
.LBB6_15:                               ;   in Loop: Header=BB6_3 Depth=1
	s_or_b64 exec, exec, s[20:21]
	v_cmp_lt_i32_e64 s[20:21], -3, v19
	s_and_b64 s[24:25], s[14:15], s[20:21]
	v_add_u32_e32 v20, 2, v19
	s_and_b64 s[74:75], s[24:25], vcc
	v_cmp_gt_i32_e64 s[14:15], s30, v20
	s_and_b64 s[74:75], s[74:75], s[22:23]
	s_and_b64 s[74:75], s[74:75], s[14:15]
	v_lshl_add_u64 v[6:7], s[62:63], 1, v[6:7]
	s_and_b64 s[76:77], s[74:75], s[0:1]
	s_and_saveexec_b64 s[74:75], s[76:77]
	s_cbranch_execz .LBB6_17
; %bb.16:                               ;   in Loop: Header=BB6_3 Depth=1
	global_load_ushort v19, v[4:5], off offset:12
	global_load_ushort v20, v[6:7], off
	s_waitcnt vmcnt(0)
	v_fma_mix_f32 v17, v19, v20, v17 op_sel_hi:[1,1,0]
.LBB6_17:                               ;   in Loop: Header=BB6_3 Depth=1
	s_or_b64 exec, exec, s[74:75]
	s_and_b64 s[74:75], s[24:25], s[2:3]
	s_and_b64 s[74:75], s[74:75], s[22:23]
	;; [unrolled: 1-line block ×4, first 2 shown]
	s_and_saveexec_b64 s[74:75], s[76:77]
	s_cbranch_execz .LBB6_19
; %bb.18:                               ;   in Loop: Header=BB6_3 Depth=1
	global_load_ushort v19, v[4:5], off offset:14
	global_load_ushort v20, v[6:7], off offset:2
	s_waitcnt vmcnt(0)
	v_fma_mix_f32 v17, v19, v20, v17 op_sel_hi:[1,1,0]
.LBB6_19:                               ;   in Loop: Header=BB6_3 Depth=1
	s_or_b64 exec, exec, s[74:75]
	s_and_b64 s[24:25], s[24:25], s[6:7]
	s_and_b64 s[22:23], s[24:25], s[22:23]
	;; [unrolled: 1-line block ×4, first 2 shown]
	s_and_saveexec_b64 s[22:23], s[24:25]
	s_cbranch_execz .LBB6_21
; %bb.20:                               ;   in Loop: Header=BB6_3 Depth=1
	global_load_ushort v19, v[4:5], off offset:16
	global_load_ushort v20, v[6:7], off offset:4
	s_waitcnt vmcnt(0)
	v_fma_mix_f32 v17, v19, v20, v17 op_sel_hi:[1,1,0]
.LBB6_21:                               ;   in Loop: Header=BB6_3 Depth=1
	s_or_b64 exec, exec, s[22:23]
	v_cmp_lt_i32_e64 s[24:25], -2, v18
	v_add_u32_e32 v19, 1, v18
	s_and_b64 s[74:75], s[24:25], s[16:17]
	v_cmp_gt_i32_e64 s[22:23], s29, v19
	s_and_b64 s[76:77], s[74:75], vcc
	s_and_b64 s[76:77], s[76:77], s[22:23]
	v_lshl_add_u64 v[6:7], s[62:63], 1, v[6:7]
	s_and_b64 s[76:77], s[76:77], s[10:11]
	v_lshl_add_u64 v[6:7], s[64:65], 1, v[6:7]
	s_and_b64 s[88:89], s[76:77], s[0:1]
	s_and_saveexec_b64 s[76:77], s[88:89]
	s_cbranch_execz .LBB6_23
; %bb.22:                               ;   in Loop: Header=BB6_3 Depth=1
	global_load_ushort v19, v[4:5], off offset:18
	global_load_ushort v20, v[6:7], off
	s_waitcnt vmcnt(0)
	v_fma_mix_f32 v17, v19, v20, v17 op_sel_hi:[1,1,0]
.LBB6_23:                               ;   in Loop: Header=BB6_3 Depth=1
	s_or_b64 exec, exec, s[76:77]
	s_and_b64 s[76:77], s[74:75], s[2:3]
	s_and_b64 s[76:77], s[76:77], s[22:23]
	;; [unrolled: 1-line block ×4, first 2 shown]
	s_and_saveexec_b64 s[76:77], s[88:89]
	s_cbranch_execz .LBB6_25
; %bb.24:                               ;   in Loop: Header=BB6_3 Depth=1
	global_load_ushort v19, v[4:5], off offset:20
	global_load_ushort v20, v[6:7], off offset:2
	s_waitcnt vmcnt(0)
	v_fma_mix_f32 v17, v19, v20, v17 op_sel_hi:[1,1,0]
.LBB6_25:                               ;   in Loop: Header=BB6_3 Depth=1
	s_or_b64 exec, exec, s[76:77]
	s_and_b64 s[74:75], s[74:75], s[6:7]
	s_and_b64 s[74:75], s[74:75], s[22:23]
	;; [unrolled: 1-line block ×4, first 2 shown]
	s_and_saveexec_b64 s[74:75], s[76:77]
	s_cbranch_execz .LBB6_27
; %bb.26:                               ;   in Loop: Header=BB6_3 Depth=1
	global_load_ushort v19, v[4:5], off offset:22
	global_load_ushort v20, v[6:7], off offset:4
	s_waitcnt vmcnt(0)
	v_fma_mix_f32 v17, v19, v20, v17 op_sel_hi:[1,1,0]
.LBB6_27:                               ;   in Loop: Header=BB6_3 Depth=1
	s_or_b64 exec, exec, s[74:75]
	s_and_b64 s[74:75], s[24:25], s[18:19]
	s_and_b64 s[76:77], s[74:75], vcc
	s_and_b64 s[76:77], s[76:77], s[22:23]
	s_and_b64 s[76:77], s[76:77], s[12:13]
	v_lshl_add_u64 v[6:7], s[62:63], 1, v[6:7]
	s_and_b64 s[88:89], s[76:77], s[0:1]
	s_and_saveexec_b64 s[76:77], s[88:89]
	s_cbranch_execz .LBB6_29
; %bb.28:                               ;   in Loop: Header=BB6_3 Depth=1
	global_load_ushort v19, v[4:5], off offset:24
	global_load_ushort v20, v[6:7], off
	s_waitcnt vmcnt(0)
	v_fma_mix_f32 v17, v19, v20, v17 op_sel_hi:[1,1,0]
.LBB6_29:                               ;   in Loop: Header=BB6_3 Depth=1
	s_or_b64 exec, exec, s[76:77]
	s_and_b64 s[76:77], s[74:75], s[2:3]
	s_and_b64 s[76:77], s[76:77], s[22:23]
	;; [unrolled: 1-line block ×4, first 2 shown]
	s_and_saveexec_b64 s[76:77], s[88:89]
	s_cbranch_execz .LBB6_31
; %bb.30:                               ;   in Loop: Header=BB6_3 Depth=1
	global_load_ushort v19, v[4:5], off offset:26
	global_load_ushort v20, v[6:7], off offset:2
	s_waitcnt vmcnt(0)
	v_fma_mix_f32 v17, v19, v20, v17 op_sel_hi:[1,1,0]
.LBB6_31:                               ;   in Loop: Header=BB6_3 Depth=1
	s_or_b64 exec, exec, s[76:77]
	s_and_b64 s[74:75], s[74:75], s[6:7]
	s_and_b64 s[74:75], s[74:75], s[22:23]
	;; [unrolled: 1-line block ×4, first 2 shown]
	s_and_saveexec_b64 s[74:75], s[76:77]
	s_cbranch_execz .LBB6_33
; %bb.32:                               ;   in Loop: Header=BB6_3 Depth=1
	global_load_ushort v19, v[4:5], off offset:28
	global_load_ushort v20, v[6:7], off offset:4
	s_waitcnt vmcnt(0)
	v_fma_mix_f32 v17, v19, v20, v17 op_sel_hi:[1,1,0]
.LBB6_33:                               ;   in Loop: Header=BB6_3 Depth=1
	s_or_b64 exec, exec, s[74:75]
	s_and_b64 s[24:25], s[24:25], s[20:21]
	s_and_b64 s[74:75], s[24:25], vcc
	s_and_b64 s[74:75], s[74:75], s[22:23]
	s_and_b64 s[74:75], s[74:75], s[14:15]
	v_lshl_add_u64 v[6:7], s[62:63], 1, v[6:7]
	s_and_b64 s[76:77], s[74:75], s[0:1]
	s_and_saveexec_b64 s[74:75], s[76:77]
	s_cbranch_execz .LBB6_35
; %bb.34:                               ;   in Loop: Header=BB6_3 Depth=1
	global_load_ushort v19, v[4:5], off offset:30
	global_load_ushort v20, v[6:7], off
	s_waitcnt vmcnt(0)
	v_fma_mix_f32 v17, v19, v20, v17 op_sel_hi:[1,1,0]
.LBB6_35:                               ;   in Loop: Header=BB6_3 Depth=1
	s_or_b64 exec, exec, s[74:75]
	s_and_b64 s[74:75], s[24:25], s[2:3]
	s_and_b64 s[74:75], s[74:75], s[22:23]
	;; [unrolled: 1-line block ×4, first 2 shown]
	s_and_saveexec_b64 s[74:75], s[76:77]
	s_cbranch_execz .LBB6_37
; %bb.36:                               ;   in Loop: Header=BB6_3 Depth=1
	global_load_ushort v19, v[4:5], off offset:32
	global_load_ushort v20, v[6:7], off offset:2
	s_waitcnt vmcnt(0)
	v_fma_mix_f32 v17, v19, v20, v17 op_sel_hi:[1,1,0]
.LBB6_37:                               ;   in Loop: Header=BB6_3 Depth=1
	s_or_b64 exec, exec, s[74:75]
	s_and_b64 s[24:25], s[24:25], s[6:7]
	s_and_b64 s[22:23], s[24:25], s[22:23]
	;; [unrolled: 1-line block ×4, first 2 shown]
	s_and_saveexec_b64 s[22:23], s[24:25]
	s_cbranch_execz .LBB6_39
; %bb.38:                               ;   in Loop: Header=BB6_3 Depth=1
	global_load_ushort v19, v[4:5], off offset:34
	global_load_ushort v20, v[6:7], off offset:4
	s_waitcnt vmcnt(0)
	v_fma_mix_f32 v17, v19, v20, v17 op_sel_hi:[1,1,0]
.LBB6_39:                               ;   in Loop: Header=BB6_3 Depth=1
	s_or_b64 exec, exec, s[22:23]
	v_cmp_lt_i32_e64 s[24:25], -3, v18
	v_add_u32_e32 v19, 2, v18
	s_and_b64 s[16:17], s[24:25], s[16:17]
	v_cmp_gt_i32_e64 s[22:23], s29, v19
	s_and_b64 s[74:75], s[16:17], vcc
	s_and_b64 s[74:75], s[74:75], s[22:23]
	v_lshl_add_u64 v[6:7], s[62:63], 1, v[6:7]
	s_and_b64 s[74:75], s[74:75], s[10:11]
	v_lshl_add_u64 v[6:7], s[64:65], 1, v[6:7]
	s_and_b64 s[76:77], s[74:75], s[0:1]
	s_and_saveexec_b64 s[74:75], s[76:77]
	s_cbranch_execz .LBB6_41
; %bb.40:                               ;   in Loop: Header=BB6_3 Depth=1
	global_load_ushort v18, v[4:5], off offset:36
	global_load_ushort v19, v[6:7], off
	s_waitcnt vmcnt(0)
	v_fma_mix_f32 v17, v18, v19, v17 op_sel_hi:[1,1,0]
.LBB6_41:                               ;   in Loop: Header=BB6_3 Depth=1
	s_or_b64 exec, exec, s[74:75]
	s_and_b64 s[74:75], s[16:17], s[2:3]
	s_and_b64 s[74:75], s[74:75], s[22:23]
	;; [unrolled: 1-line block ×4, first 2 shown]
	s_and_saveexec_b64 s[74:75], s[76:77]
	s_cbranch_execz .LBB6_43
; %bb.42:                               ;   in Loop: Header=BB6_3 Depth=1
	global_load_ushort v18, v[4:5], off offset:38
	global_load_ushort v19, v[6:7], off offset:2
	s_waitcnt vmcnt(0)
	v_fma_mix_f32 v17, v18, v19, v17 op_sel_hi:[1,1,0]
.LBB6_43:                               ;   in Loop: Header=BB6_3 Depth=1
	s_or_b64 exec, exec, s[74:75]
	s_and_b64 s[16:17], s[16:17], s[6:7]
	s_and_b64 s[16:17], s[16:17], s[22:23]
	;; [unrolled: 1-line block ×4, first 2 shown]
	s_and_saveexec_b64 s[10:11], s[16:17]
	s_cbranch_execz .LBB6_45
; %bb.44:                               ;   in Loop: Header=BB6_3 Depth=1
	global_load_ushort v18, v[4:5], off offset:40
	global_load_ushort v19, v[6:7], off offset:4
	s_waitcnt vmcnt(0)
	v_fma_mix_f32 v17, v18, v19, v17 op_sel_hi:[1,1,0]
.LBB6_45:                               ;   in Loop: Header=BB6_3 Depth=1
	s_or_b64 exec, exec, s[10:11]
	s_and_b64 s[10:11], s[24:25], s[18:19]
	s_and_b64 s[16:17], s[10:11], vcc
	s_and_b64 s[16:17], s[16:17], s[22:23]
	s_and_b64 s[16:17], s[16:17], s[12:13]
	v_lshl_add_u64 v[6:7], s[62:63], 1, v[6:7]
	s_and_b64 s[18:19], s[16:17], s[0:1]
	s_and_saveexec_b64 s[16:17], s[18:19]
	s_cbranch_execz .LBB6_47
; %bb.46:                               ;   in Loop: Header=BB6_3 Depth=1
	global_load_ushort v18, v[4:5], off offset:42
	global_load_ushort v19, v[6:7], off
	s_waitcnt vmcnt(0)
	v_fma_mix_f32 v17, v18, v19, v17 op_sel_hi:[1,1,0]
.LBB6_47:                               ;   in Loop: Header=BB6_3 Depth=1
	s_or_b64 exec, exec, s[16:17]
	s_and_b64 s[16:17], s[10:11], s[2:3]
	s_and_b64 s[16:17], s[16:17], s[22:23]
	;; [unrolled: 1-line block ×4, first 2 shown]
	s_and_saveexec_b64 s[16:17], s[18:19]
	s_cbranch_execz .LBB6_49
; %bb.48:                               ;   in Loop: Header=BB6_3 Depth=1
	global_load_ushort v18, v[4:5], off offset:44
	global_load_ushort v19, v[6:7], off offset:2
	s_waitcnt vmcnt(0)
	v_fma_mix_f32 v17, v18, v19, v17 op_sel_hi:[1,1,0]
.LBB6_49:                               ;   in Loop: Header=BB6_3 Depth=1
	s_or_b64 exec, exec, s[16:17]
	s_and_b64 s[10:11], s[10:11], s[6:7]
	s_and_b64 s[10:11], s[10:11], s[22:23]
	;; [unrolled: 1-line block ×4, first 2 shown]
	s_and_saveexec_b64 s[10:11], s[12:13]
	s_cbranch_execz .LBB6_51
; %bb.50:                               ;   in Loop: Header=BB6_3 Depth=1
	global_load_ushort v18, v[4:5], off offset:46
	global_load_ushort v19, v[6:7], off offset:4
	s_waitcnt vmcnt(0)
	v_fma_mix_f32 v17, v18, v19, v17 op_sel_hi:[1,1,0]
.LBB6_51:                               ;   in Loop: Header=BB6_3 Depth=1
	s_or_b64 exec, exec, s[10:11]
	s_and_b64 s[10:11], s[24:25], s[20:21]
	s_and_b64 s[12:13], s[10:11], vcc
	s_and_b64 s[12:13], s[12:13], s[22:23]
	s_and_b64 s[12:13], s[12:13], s[14:15]
	v_lshl_add_u64 v[6:7], s[62:63], 1, v[6:7]
	s_and_b64 s[12:13], s[12:13], s[0:1]
	s_and_saveexec_b64 s[0:1], s[12:13]
	s_cbranch_execz .LBB6_53
; %bb.52:                               ;   in Loop: Header=BB6_3 Depth=1
	global_load_ushort v18, v[4:5], off offset:48
	global_load_ushort v19, v[6:7], off
	s_waitcnt vmcnt(0)
	v_fma_mix_f32 v17, v18, v19, v17 op_sel_hi:[1,1,0]
.LBB6_53:                               ;   in Loop: Header=BB6_3 Depth=1
	s_or_b64 exec, exec, s[0:1]
	s_and_b64 s[0:1], s[10:11], s[2:3]
	s_and_b64 s[0:1], s[0:1], s[22:23]
	;; [unrolled: 1-line block ×4, first 2 shown]
	s_and_saveexec_b64 s[0:1], s[2:3]
	s_cbranch_execz .LBB6_55
; %bb.54:                               ;   in Loop: Header=BB6_3 Depth=1
	global_load_ushort v18, v[4:5], off offset:50
	global_load_ushort v19, v[6:7], off offset:2
	s_waitcnt vmcnt(0)
	v_fma_mix_f32 v17, v18, v19, v17 op_sel_hi:[1,1,0]
.LBB6_55:                               ;   in Loop: Header=BB6_3 Depth=1
	s_or_b64 exec, exec, s[0:1]
	s_and_b64 s[0:1], s[10:11], s[6:7]
	s_and_b64 s[0:1], s[0:1], s[22:23]
	;; [unrolled: 1-line block ×4, first 2 shown]
	s_and_saveexec_b64 s[0:1], s[2:3]
	s_cbranch_execz .LBB6_57
; %bb.56:                               ;   in Loop: Header=BB6_3 Depth=1
	global_load_ushort v4, v[4:5], off offset:52
	s_nop 0
	global_load_ushort v5, v[6:7], off offset:4
	s_waitcnt vmcnt(0)
	v_fma_mix_f32 v17, v4, v5, v17 op_sel_hi:[1,1,0]
.LBB6_57:                               ;   in Loop: Header=BB6_3 Depth=1
	s_or_b64 exec, exec, s[0:1]
	s_andn2_b64 vcc, exec, s[66:67]
	s_cbranch_vccnz .LBB6_2
; %bb.58:                               ;   in Loop: Header=BB6_3 Depth=1
	v_lshl_add_u64 v[4:5], v[2:3], 1, s[58:59]
	global_load_ushort v3, v[4:5], off
	s_waitcnt vmcnt(0)
	v_cvt_f32_f16_e32 v3, v3
	v_add_f32_e32 v17, v17, v3
	s_branch .LBB6_2
.LBB6_59:
	s_endpgm
	.section	.rodata,"a",@progbits
	.p2align	6, 0x0
	.amdhsa_kernel _ZN2at6native12_GLOBAL__N_128conv_depthwise3d_cuda_kernelIN3c104HalfEfLi3ELi3ELi3ELi1ELi1ELi1EEEvN5torch10headeronly6detail27GenericPackedTensorAccessorINS7_14TensorAccessorINS3_8ArrayRefIlEEKT_Lm4ENS6_16DefaultPtrTraitsEiEENS_6detail16IndexBoundsCheckILm5EiEESD_Lm5ESE_iEENS8_INS9_ISB_SC_Lm4ESE_iEESI_SC_Lm5ESE_iEESJ_PSD_iiiiiiiii
		.amdhsa_group_segment_fixed_size 0
		.amdhsa_private_segment_fixed_size 0
		.amdhsa_kernarg_size 448
		.amdhsa_user_sgpr_count 2
		.amdhsa_user_sgpr_dispatch_ptr 0
		.amdhsa_user_sgpr_queue_ptr 0
		.amdhsa_user_sgpr_kernarg_segment_ptr 1
		.amdhsa_user_sgpr_dispatch_id 0
		.amdhsa_user_sgpr_kernarg_preload_length 0
		.amdhsa_user_sgpr_kernarg_preload_offset 0
		.amdhsa_user_sgpr_private_segment_size 0
		.amdhsa_uses_dynamic_stack 0
		.amdhsa_enable_private_segment 0
		.amdhsa_system_sgpr_workgroup_id_x 1
		.amdhsa_system_sgpr_workgroup_id_y 0
		.amdhsa_system_sgpr_workgroup_id_z 0
		.amdhsa_system_sgpr_workgroup_info 0
		.amdhsa_system_vgpr_workitem_id 0
		.amdhsa_next_free_vgpr 24
		.amdhsa_next_free_sgpr 90
		.amdhsa_accum_offset 24
		.amdhsa_reserve_vcc 1
		.amdhsa_float_round_mode_32 0
		.amdhsa_float_round_mode_16_64 0
		.amdhsa_float_denorm_mode_32 3
		.amdhsa_float_denorm_mode_16_64 3
		.amdhsa_dx10_clamp 1
		.amdhsa_ieee_mode 1
		.amdhsa_fp16_overflow 0
		.amdhsa_tg_split 0
		.amdhsa_exception_fp_ieee_invalid_op 0
		.amdhsa_exception_fp_denorm_src 0
		.amdhsa_exception_fp_ieee_div_zero 0
		.amdhsa_exception_fp_ieee_overflow 0
		.amdhsa_exception_fp_ieee_underflow 0
		.amdhsa_exception_fp_ieee_inexact 0
		.amdhsa_exception_int_div_zero 0
	.end_amdhsa_kernel
	.section	.text._ZN2at6native12_GLOBAL__N_128conv_depthwise3d_cuda_kernelIN3c104HalfEfLi3ELi3ELi3ELi1ELi1ELi1EEEvN5torch10headeronly6detail27GenericPackedTensorAccessorINS7_14TensorAccessorINS3_8ArrayRefIlEEKT_Lm4ENS6_16DefaultPtrTraitsEiEENS_6detail16IndexBoundsCheckILm5EiEESD_Lm5ESE_iEENS8_INS9_ISB_SC_Lm4ESE_iEESI_SC_Lm5ESE_iEESJ_PSD_iiiiiiiii,"axG",@progbits,_ZN2at6native12_GLOBAL__N_128conv_depthwise3d_cuda_kernelIN3c104HalfEfLi3ELi3ELi3ELi1ELi1ELi1EEEvN5torch10headeronly6detail27GenericPackedTensorAccessorINS7_14TensorAccessorINS3_8ArrayRefIlEEKT_Lm4ENS6_16DefaultPtrTraitsEiEENS_6detail16IndexBoundsCheckILm5EiEESD_Lm5ESE_iEENS8_INS9_ISB_SC_Lm4ESE_iEESI_SC_Lm5ESE_iEESJ_PSD_iiiiiiiii,comdat
.Lfunc_end6:
	.size	_ZN2at6native12_GLOBAL__N_128conv_depthwise3d_cuda_kernelIN3c104HalfEfLi3ELi3ELi3ELi1ELi1ELi1EEEvN5torch10headeronly6detail27GenericPackedTensorAccessorINS7_14TensorAccessorINS3_8ArrayRefIlEEKT_Lm4ENS6_16DefaultPtrTraitsEiEENS_6detail16IndexBoundsCheckILm5EiEESD_Lm5ESE_iEENS8_INS9_ISB_SC_Lm4ESE_iEESI_SC_Lm5ESE_iEESJ_PSD_iiiiiiiii, .Lfunc_end6-_ZN2at6native12_GLOBAL__N_128conv_depthwise3d_cuda_kernelIN3c104HalfEfLi3ELi3ELi3ELi1ELi1ELi1EEEvN5torch10headeronly6detail27GenericPackedTensorAccessorINS7_14TensorAccessorINS3_8ArrayRefIlEEKT_Lm4ENS6_16DefaultPtrTraitsEiEENS_6detail16IndexBoundsCheckILm5EiEESD_Lm5ESE_iEENS8_INS9_ISB_SC_Lm4ESE_iEESI_SC_Lm5ESE_iEESJ_PSD_iiiiiiiii
                                        ; -- End function
	.set _ZN2at6native12_GLOBAL__N_128conv_depthwise3d_cuda_kernelIN3c104HalfEfLi3ELi3ELi3ELi1ELi1ELi1EEEvN5torch10headeronly6detail27GenericPackedTensorAccessorINS7_14TensorAccessorINS3_8ArrayRefIlEEKT_Lm4ENS6_16DefaultPtrTraitsEiEENS_6detail16IndexBoundsCheckILm5EiEESD_Lm5ESE_iEENS8_INS9_ISB_SC_Lm4ESE_iEESI_SC_Lm5ESE_iEESJ_PSD_iiiiiiiii.num_vgpr, 24
	.set _ZN2at6native12_GLOBAL__N_128conv_depthwise3d_cuda_kernelIN3c104HalfEfLi3ELi3ELi3ELi1ELi1ELi1EEEvN5torch10headeronly6detail27GenericPackedTensorAccessorINS7_14TensorAccessorINS3_8ArrayRefIlEEKT_Lm4ENS6_16DefaultPtrTraitsEiEENS_6detail16IndexBoundsCheckILm5EiEESD_Lm5ESE_iEENS8_INS9_ISB_SC_Lm4ESE_iEESI_SC_Lm5ESE_iEESJ_PSD_iiiiiiiii.num_agpr, 0
	.set _ZN2at6native12_GLOBAL__N_128conv_depthwise3d_cuda_kernelIN3c104HalfEfLi3ELi3ELi3ELi1ELi1ELi1EEEvN5torch10headeronly6detail27GenericPackedTensorAccessorINS7_14TensorAccessorINS3_8ArrayRefIlEEKT_Lm4ENS6_16DefaultPtrTraitsEiEENS_6detail16IndexBoundsCheckILm5EiEESD_Lm5ESE_iEENS8_INS9_ISB_SC_Lm4ESE_iEESI_SC_Lm5ESE_iEESJ_PSD_iiiiiiiii.numbered_sgpr, 90
	.set _ZN2at6native12_GLOBAL__N_128conv_depthwise3d_cuda_kernelIN3c104HalfEfLi3ELi3ELi3ELi1ELi1ELi1EEEvN5torch10headeronly6detail27GenericPackedTensorAccessorINS7_14TensorAccessorINS3_8ArrayRefIlEEKT_Lm4ENS6_16DefaultPtrTraitsEiEENS_6detail16IndexBoundsCheckILm5EiEESD_Lm5ESE_iEENS8_INS9_ISB_SC_Lm4ESE_iEESI_SC_Lm5ESE_iEESJ_PSD_iiiiiiiii.num_named_barrier, 0
	.set _ZN2at6native12_GLOBAL__N_128conv_depthwise3d_cuda_kernelIN3c104HalfEfLi3ELi3ELi3ELi1ELi1ELi1EEEvN5torch10headeronly6detail27GenericPackedTensorAccessorINS7_14TensorAccessorINS3_8ArrayRefIlEEKT_Lm4ENS6_16DefaultPtrTraitsEiEENS_6detail16IndexBoundsCheckILm5EiEESD_Lm5ESE_iEENS8_INS9_ISB_SC_Lm4ESE_iEESI_SC_Lm5ESE_iEESJ_PSD_iiiiiiiii.private_seg_size, 0
	.set _ZN2at6native12_GLOBAL__N_128conv_depthwise3d_cuda_kernelIN3c104HalfEfLi3ELi3ELi3ELi1ELi1ELi1EEEvN5torch10headeronly6detail27GenericPackedTensorAccessorINS7_14TensorAccessorINS3_8ArrayRefIlEEKT_Lm4ENS6_16DefaultPtrTraitsEiEENS_6detail16IndexBoundsCheckILm5EiEESD_Lm5ESE_iEENS8_INS9_ISB_SC_Lm4ESE_iEESI_SC_Lm5ESE_iEESJ_PSD_iiiiiiiii.uses_vcc, 1
	.set _ZN2at6native12_GLOBAL__N_128conv_depthwise3d_cuda_kernelIN3c104HalfEfLi3ELi3ELi3ELi1ELi1ELi1EEEvN5torch10headeronly6detail27GenericPackedTensorAccessorINS7_14TensorAccessorINS3_8ArrayRefIlEEKT_Lm4ENS6_16DefaultPtrTraitsEiEENS_6detail16IndexBoundsCheckILm5EiEESD_Lm5ESE_iEENS8_INS9_ISB_SC_Lm4ESE_iEESI_SC_Lm5ESE_iEESJ_PSD_iiiiiiiii.uses_flat_scratch, 0
	.set _ZN2at6native12_GLOBAL__N_128conv_depthwise3d_cuda_kernelIN3c104HalfEfLi3ELi3ELi3ELi1ELi1ELi1EEEvN5torch10headeronly6detail27GenericPackedTensorAccessorINS7_14TensorAccessorINS3_8ArrayRefIlEEKT_Lm4ENS6_16DefaultPtrTraitsEiEENS_6detail16IndexBoundsCheckILm5EiEESD_Lm5ESE_iEENS8_INS9_ISB_SC_Lm4ESE_iEESI_SC_Lm5ESE_iEESJ_PSD_iiiiiiiii.has_dyn_sized_stack, 0
	.set _ZN2at6native12_GLOBAL__N_128conv_depthwise3d_cuda_kernelIN3c104HalfEfLi3ELi3ELi3ELi1ELi1ELi1EEEvN5torch10headeronly6detail27GenericPackedTensorAccessorINS7_14TensorAccessorINS3_8ArrayRefIlEEKT_Lm4ENS6_16DefaultPtrTraitsEiEENS_6detail16IndexBoundsCheckILm5EiEESD_Lm5ESE_iEENS8_INS9_ISB_SC_Lm4ESE_iEESI_SC_Lm5ESE_iEESJ_PSD_iiiiiiiii.has_recursion, 0
	.set _ZN2at6native12_GLOBAL__N_128conv_depthwise3d_cuda_kernelIN3c104HalfEfLi3ELi3ELi3ELi1ELi1ELi1EEEvN5torch10headeronly6detail27GenericPackedTensorAccessorINS7_14TensorAccessorINS3_8ArrayRefIlEEKT_Lm4ENS6_16DefaultPtrTraitsEiEENS_6detail16IndexBoundsCheckILm5EiEESD_Lm5ESE_iEENS8_INS9_ISB_SC_Lm4ESE_iEESI_SC_Lm5ESE_iEESJ_PSD_iiiiiiiii.has_indirect_call, 0
	.section	.AMDGPU.csdata,"",@progbits
; Kernel info:
; codeLenInByte = 3216
; TotalNumSgprs: 96
; NumVgprs: 24
; NumAgprs: 0
; TotalNumVgprs: 24
; ScratchSize: 0
; MemoryBound: 0
; FloatMode: 240
; IeeeMode: 1
; LDSByteSize: 0 bytes/workgroup (compile time only)
; SGPRBlocks: 11
; VGPRBlocks: 2
; NumSGPRsForWavesPerEU: 96
; NumVGPRsForWavesPerEU: 24
; AccumOffset: 24
; Occupancy: 8
; WaveLimiterHint : 0
; COMPUTE_PGM_RSRC2:SCRATCH_EN: 0
; COMPUTE_PGM_RSRC2:USER_SGPR: 2
; COMPUTE_PGM_RSRC2:TRAP_HANDLER: 0
; COMPUTE_PGM_RSRC2:TGID_X_EN: 1
; COMPUTE_PGM_RSRC2:TGID_Y_EN: 0
; COMPUTE_PGM_RSRC2:TGID_Z_EN: 0
; COMPUTE_PGM_RSRC2:TIDIG_COMP_CNT: 0
; COMPUTE_PGM_RSRC3_GFX90A:ACCUM_OFFSET: 5
; COMPUTE_PGM_RSRC3_GFX90A:TG_SPLIT: 0
	.section	.text._ZN2at6native12_GLOBAL__N_128conv_depthwise3d_cuda_kernelIN3c104HalfEfLin1ELin1ELin1ELi1ELi1ELi1EEEvN5torch10headeronly6detail27GenericPackedTensorAccessorINS7_14TensorAccessorINS3_8ArrayRefIlEEKT_Lm4ENS6_16DefaultPtrTraitsEiEENS_6detail16IndexBoundsCheckILm5EiEESD_Lm5ESE_iEENS8_INS9_ISB_SC_Lm4ESE_iEESI_SC_Lm5ESE_iEESJ_PSD_iiiiiiiii,"axG",@progbits,_ZN2at6native12_GLOBAL__N_128conv_depthwise3d_cuda_kernelIN3c104HalfEfLin1ELin1ELin1ELi1ELi1ELi1EEEvN5torch10headeronly6detail27GenericPackedTensorAccessorINS7_14TensorAccessorINS3_8ArrayRefIlEEKT_Lm4ENS6_16DefaultPtrTraitsEiEENS_6detail16IndexBoundsCheckILm5EiEESD_Lm5ESE_iEENS8_INS9_ISB_SC_Lm4ESE_iEESI_SC_Lm5ESE_iEESJ_PSD_iiiiiiiii,comdat
	.globl	_ZN2at6native12_GLOBAL__N_128conv_depthwise3d_cuda_kernelIN3c104HalfEfLin1ELin1ELin1ELi1ELi1ELi1EEEvN5torch10headeronly6detail27GenericPackedTensorAccessorINS7_14TensorAccessorINS3_8ArrayRefIlEEKT_Lm4ENS6_16DefaultPtrTraitsEiEENS_6detail16IndexBoundsCheckILm5EiEESD_Lm5ESE_iEENS8_INS9_ISB_SC_Lm4ESE_iEESI_SC_Lm5ESE_iEESJ_PSD_iiiiiiiii ; -- Begin function _ZN2at6native12_GLOBAL__N_128conv_depthwise3d_cuda_kernelIN3c104HalfEfLin1ELin1ELin1ELi1ELi1ELi1EEEvN5torch10headeronly6detail27GenericPackedTensorAccessorINS7_14TensorAccessorINS3_8ArrayRefIlEEKT_Lm4ENS6_16DefaultPtrTraitsEiEENS_6detail16IndexBoundsCheckILm5EiEESD_Lm5ESE_iEENS8_INS9_ISB_SC_Lm4ESE_iEESI_SC_Lm5ESE_iEESJ_PSD_iiiiiiiii
	.p2align	8
	.type	_ZN2at6native12_GLOBAL__N_128conv_depthwise3d_cuda_kernelIN3c104HalfEfLin1ELin1ELin1ELi1ELi1ELi1EEEvN5torch10headeronly6detail27GenericPackedTensorAccessorINS7_14TensorAccessorINS3_8ArrayRefIlEEKT_Lm4ENS6_16DefaultPtrTraitsEiEENS_6detail16IndexBoundsCheckILm5EiEESD_Lm5ESE_iEENS8_INS9_ISB_SC_Lm4ESE_iEESI_SC_Lm5ESE_iEESJ_PSD_iiiiiiiii,@function
_ZN2at6native12_GLOBAL__N_128conv_depthwise3d_cuda_kernelIN3c104HalfEfLin1ELin1ELin1ELi1ELi1ELi1EEEvN5torch10headeronly6detail27GenericPackedTensorAccessorINS7_14TensorAccessorINS3_8ArrayRefIlEEKT_Lm4ENS6_16DefaultPtrTraitsEiEENS_6detail16IndexBoundsCheckILm5EiEESD_Lm5ESE_iEENS8_INS9_ISB_SC_Lm4ESE_iEESI_SC_Lm5ESE_iEESJ_PSD_iiiiiiiii: ; @_ZN2at6native12_GLOBAL__N_128conv_depthwise3d_cuda_kernelIN3c104HalfEfLin1ELin1ELin1ELi1ELi1ELi1EEEvN5torch10headeronly6detail27GenericPackedTensorAccessorINS7_14TensorAccessorINS3_8ArrayRefIlEEKT_Lm4ENS6_16DefaultPtrTraitsEiEENS_6detail16IndexBoundsCheckILm5EiEESD_Lm5ESE_iEENS8_INS9_ISB_SC_Lm4ESE_iEESI_SC_Lm5ESE_iEESJ_PSD_iiiiiiiii
; %bb.0:
	s_load_dwordx4 s[8:11], s[0:1], 0xc
	s_load_dwordx4 s[12:15], s[0:1], 0x38
	s_load_dwordx2 s[6:7], s[0:1], 0x48
	s_load_dword s4, s[0:1], 0xcc
	v_mov_b32_e32 v3, s2
	s_waitcnt lgkmcnt(0)
	s_abs_i32 s5, s8
	v_cvt_f32_u32_e32 v2, s5
	s_add_u32 s2, s0, 0xc0
	v_mov_b32_e32 v1, 0
	s_mul_i32 s34, s7, s12
	v_rcp_iflag_f32_e32 v2, v2
	s_addc_u32 s3, s1, 0
	s_and_b32 s4, s4, 0xffff
	v_mad_u64_u32 v[0:1], s[16:17], s4, v3, v[0:1]
	v_mul_f32_e32 v2, 0x4f7ffffe, v2
	v_cvt_u32_f32_e32 v2, v2
	s_ashr_i32 s35, s34, 31
	v_cmp_gt_i64_e32 vcc, s[34:35], v[0:1]
	v_readfirstlane_b32 s16, v2
	s_and_saveexec_b64 s[18:19], vcc
	s_cbranch_execz .LBB7_17
; %bb.1:
	s_sub_i32 s17, 0, s5
	s_mul_i32 s17, s17, s16
	s_mul_hi_u32 s17, s16, s17
	s_ashr_i32 s24, s8, 31
	s_abs_i32 s8, s13
	s_add_i32 s16, s16, s17
	s_ashr_i32 s12, s13, 31
	s_mul_hi_u32 s25, s8, s16
	s_load_dwordx2 s[38:39], s[0:1], 0x90
	s_load_dwordx4 s[16:19], s[0:1], 0x98
	s_load_dwordx2 s[40:41], s[0:1], 0xa8
	s_load_dwordx4 s[20:23], s[0:1], 0x70
	s_waitcnt lgkmcnt(0)
	s_xor_b32 s23, s12, s24
	s_mul_i32 s24, s25, s5
	s_sub_i32 s24, s8, s24
	s_add_i32 s26, s25, 1
	s_sub_i32 s27, s24, s5
	s_cmp_ge_u32 s24, s5
	s_cselect_b32 s25, s26, s25
	s_cselect_b32 s24, s27, s24
	s_add_i32 s26, s25, 1
	s_cmp_ge_u32 s24, s5
	s_cselect_b32 s5, s26, s25
	s_xor_b32 s5, s5, s23
	s_sub_i32 s5, s5, s23
	s_cmp_gt_i32 s20, 0
	s_cselect_b64 s[44:45], -1, 0
	s_cmp_gt_i32 s21, 0
	s_cselect_b64 s[46:47], -1, 0
	s_cmp_gt_i32 s22, 0
	s_load_dword s36, s[2:3], 0x0
	s_load_dword s23, s[0:1], 0x7c
	s_load_dwordx2 s[42:43], s[0:1], 0x0
	s_load_dwordx4 s[24:27], s[0:1], 0x1c
	s_cselect_b64 s[48:49], -1, 0
	s_sub_i32 s2, s10, s21
	s_sub_i32 s50, s11, s22
	s_mul_i32 s52, s11, s2
	s_ashr_i32 s51, s50, 31
	s_ashr_i32 s53, s52, 31
	s_cmp_lg_u64 s[38:39], 0
	s_cselect_b64 s[54:55], -1, 0
	s_abs_i32 s33, s6
	v_cvt_f32_u32_e32 v2, s33
	s_abs_i32 s65, s15
	v_cvt_f32_u32_e32 v3, s65
	s_load_dword s64, s[0:1], 0x2c
	s_load_dwordx2 s[56:57], s[0:1], 0x30
	v_rcp_iflag_f32_e32 v2, v2
	s_load_dwordx2 s[60:61], s[0:1], 0x60
	s_load_dwordx4 s[28:31], s[0:1], 0x50
	v_rcp_iflag_f32_e32 v3, v3
	s_sub_i32 s0, 0, s33
	v_mul_f32_e32 v2, 0x4f7ffffe, v2
	v_cvt_u32_f32_e32 v2, v2
	s_abs_i32 s67, s14
	s_abs_i32 s70, s5
	v_cvt_f32_u32_e32 v5, s70
	v_mul_lo_u32 v4, s0, v2
	v_mul_hi_u32 v4, v2, v4
	v_add_u32_e32 v8, v2, v4
	v_mul_f32_e32 v2, 0x4f7ffffe, v3
	v_cvt_f32_u32_e32 v3, s67
	v_cvt_u32_f32_e32 v2, v2
	s_sub_i32 s0, 0, s65
	s_mov_b32 s37, 0
	v_rcp_iflag_f32_e32 v3, v3
	v_mul_lo_u32 v4, s0, v2
	v_mul_hi_u32 v4, v2, v4
	v_add_u32_e32 v9, v2, v4
	v_mul_f32_e32 v2, 0x4f7ffffe, v3
	v_cvt_u32_f32_e32 v2, v2
	v_cvt_f32_u32_e32 v3, s8
	s_sub_i32 s0, 0, s67
	s_mov_b64 s[58:59], 0
	v_mul_lo_u32 v4, s0, v2
	v_rcp_iflag_f32_e32 v3, v3
	v_mul_hi_u32 v4, v2, v4
	v_add_u32_e32 v10, v2, v4
	v_rcp_iflag_f32_e32 v2, v5
	v_mul_f32_e32 v3, 0x4f7ffffe, v3
	v_cvt_u32_f32_e32 v3, v3
	s_sub_i32 s0, 0, s8
	v_mul_f32_e32 v2, 0x4f7ffffe, v2
	v_cvt_u32_f32_e32 v2, v2
	v_mul_lo_u32 v4, s0, v3
	v_mul_hi_u32 v4, v3, v4
	s_sub_i32 s0, 0, s70
	v_add_u32_e32 v11, v3, v4
	v_mul_lo_u32 v3, s0, v2
	v_mul_hi_u32 v3, v2, v3
	s_waitcnt lgkmcnt(0)
	s_mul_i32 s36, s36, s4
	s_ashr_i32 s66, s6, 31
	s_ashr_i32 s68, s15, 31
	;; [unrolled: 1-line block ×4, first 2 shown]
	v_add_u32_e32 v12, v2, v3
	s_branch .LBB7_3
.LBB7_2:                                ;   in Loop: Header=BB7_3 Depth=1
	v_mul_lo_u32 v4, v16, s7
	v_ashrrev_i32_e32 v5, 31, v4
	v_mul_lo_u32 v2, s28, v2
	v_lshl_add_u64 v[4:5], v[4:5], 1, s[56:57]
	v_ashrrev_i32_e32 v3, 31, v2
	v_lshl_add_u64 v[2:3], v[2:3], 1, v[4:5]
	v_mul_lo_u32 v4, s29, v15
	v_ashrrev_i32_e32 v5, 31, v4
	v_lshl_add_u64 v[2:3], v[4:5], 1, v[2:3]
	v_mul_lo_u32 v4, s30, v14
	v_cvt_f16_f32_e32 v6, v20
	v_ashrrev_i32_e32 v5, 31, v4
	v_lshl_add_u64 v[2:3], v[4:5], 1, v[2:3]
	v_mul_lo_u32 v4, s31, v13
	v_lshl_add_u64 v[0:1], v[0:1], 0, s[36:37]
	v_ashrrev_i32_e32 v5, 31, v4
	v_cmp_le_i64_e32 vcc, s[34:35], v[0:1]
	v_lshl_add_u64 v[2:3], v[4:5], 1, v[2:3]
	s_or_b64 s[58:59], vcc, s[58:59]
	global_store_short v[2:3], v6, off
	s_andn2_b64 exec, exec, s[58:59]
	s_cbranch_execz .LBB7_17
.LBB7_3:                                ; =>This Loop Header: Depth=1
                                        ;     Child Loop BB7_6 Depth 2
                                        ;       Child Loop BB7_9 Depth 3
                                        ;         Child Loop BB7_12 Depth 4
	v_sub_u32_e32 v3, 0, v0
	v_max_i32_e32 v3, v0, v3
	v_mul_hi_u32 v4, v3, v8
	v_mul_lo_u32 v5, v4, s33
	v_sub_u32_e32 v3, v3, v5
	v_add_u32_e32 v5, 1, v4
	v_cmp_le_u32_e32 vcc, s33, v3
	v_ashrrev_i32_e32 v2, 31, v0
	v_xor_b32_e32 v2, s66, v2
	v_cndmask_b32_e32 v4, v4, v5, vcc
	v_subrev_u32_e32 v5, s33, v3
	v_cndmask_b32_e32 v3, v3, v5, vcc
	v_add_u32_e32 v5, 1, v4
	v_cmp_le_u32_e32 vcc, s33, v3
	s_nop 1
	v_cndmask_b32_e32 v3, v4, v5, vcc
	v_xor_b32_e32 v3, v3, v2
	v_sub_u32_e32 v2, v3, v2
	v_sub_u32_e32 v4, 0, v2
	v_max_i32_e32 v4, v2, v4
	v_mul_hi_u32 v5, v4, v9
	v_mul_lo_u32 v6, v5, s65
	v_sub_u32_e32 v4, v4, v6
	v_add_u32_e32 v6, 1, v5
	v_cmp_le_u32_e32 vcc, s65, v4
	v_mul_lo_u32 v3, v2, s6
	v_sub_u32_e32 v13, v0, v3
	v_cndmask_b32_e32 v5, v5, v6, vcc
	v_subrev_u32_e32 v6, s65, v4
	v_cndmask_b32_e32 v4, v4, v6, vcc
	v_ashrrev_i32_e32 v3, 31, v2
	v_add_u32_e32 v6, 1, v5
	v_cmp_le_u32_e32 vcc, s65, v4
	v_xor_b32_e32 v3, s68, v3
	s_nop 0
	v_cndmask_b32_e32 v4, v5, v6, vcc
	v_xor_b32_e32 v4, v4, v3
	v_sub_u32_e32 v3, v4, v3
	v_mul_lo_u32 v4, v3, s15
	v_sub_u32_e32 v14, v2, v4
	v_sub_u32_e32 v4, 0, v3
	v_max_i32_e32 v4, v3, v4
	v_mul_hi_u32 v5, v4, v10
	v_mul_lo_u32 v6, v5, s67
	v_sub_u32_e32 v4, v4, v6
	v_add_u32_e32 v6, 1, v5
	v_cmp_le_u32_e32 vcc, s67, v4
	v_ashrrev_i32_e32 v2, 31, v3
	v_xor_b32_e32 v2, s69, v2
	v_cndmask_b32_e32 v5, v5, v6, vcc
	v_subrev_u32_e32 v6, s67, v4
	v_cndmask_b32_e32 v4, v4, v6, vcc
	v_add_u32_e32 v6, 1, v5
	v_cmp_le_u32_e32 vcc, s67, v4
	s_nop 1
	v_cndmask_b32_e32 v4, v5, v6, vcc
	v_xor_b32_e32 v4, v4, v2
	v_sub_u32_e32 v2, v4, v2
	v_mul_lo_u32 v4, v2, s14
	v_sub_u32_e32 v15, v3, v4
	v_sub_u32_e32 v4, 0, v2
	v_max_i32_e32 v4, v2, v4
	v_mul_hi_u32 v5, v4, v11
	v_mul_lo_u32 v6, v5, s8
	v_sub_u32_e32 v4, v4, v6
	v_add_u32_e32 v6, 1, v5
	v_cmp_le_u32_e32 vcc, s8, v4
	v_ashrrev_i32_e32 v3, 31, v2
	v_xor_b32_e32 v3, s12, v3
	v_cndmask_b32_e32 v5, v5, v6, vcc
	v_subrev_u32_e32 v6, s8, v4
	v_cndmask_b32_e32 v4, v4, v6, vcc
	v_add_u32_e32 v6, 1, v5
	v_cmp_le_u32_e32 vcc, s8, v4
	s_nop 1
	v_cndmask_b32_e32 v4, v5, v6, vcc
	v_xor_b32_e32 v4, v4, v3
	v_sub_u32_e32 v16, v4, v3
	v_mul_lo_u32 v3, v16, s13
	v_sub_u32_e32 v2, v2, v3
	s_andn2_b64 vcc, exec, s[44:45]
	v_ashrrev_i32_e32 v3, 31, v2
	s_cbranch_vccnz .LBB7_14
; %bb.4:                                ;   in Loop: Header=BB7_3 Depth=1
	v_sub_u32_e32 v7, 0, v2
	v_max_i32_e32 v7, v2, v7
	v_mul_hi_u32 v20, v7, v12
	v_mul_lo_u32 v21, v20, s70
	v_sub_u32_e32 v7, v7, v21
	v_add_u32_e32 v21, 1, v20
	v_cmp_le_u32_e32 vcc, s70, v7
	v_mul_lo_u32 v4, v13, s18
	v_subrev_u32_e32 v17, s41, v4
	v_cndmask_b32_e32 v20, v20, v21, vcc
	v_subrev_u32_e32 v21, s70, v7
	v_cndmask_b32_e32 v7, v7, v21, vcc
	v_add_u32_e32 v21, 1, v20
	v_cmp_le_u32_e32 vcc, s70, v7
	v_mul_lo_u32 v4, v14, s17
	v_xor_b32_e32 v6, s71, v3
	v_cndmask_b32_e32 v7, v20, v21, vcc
	v_subrev_u32_e32 v18, s40, v4
	v_mul_lo_u32 v4, v15, s16
	v_xor_b32_e32 v7, v7, v6
	v_subrev_u32_e32 v19, s19, v4
	v_mul_lo_u32 v4, s24, v16
	v_sub_u32_e32 v6, v7, v6
	v_ashrrev_i32_e32 v5, 31, v4
	v_mul_lo_u32 v6, s25, v6
	v_lshl_add_u64 v[4:5], v[4:5], 1, s[42:43]
	v_ashrrev_i32_e32 v7, 31, v6
	v_lshl_add_u64 v[4:5], v[6:7], 1, v[4:5]
	v_mul_lo_u32 v6, s26, v19
	v_ashrrev_i32_e32 v7, 31, v6
	v_lshl_add_u64 v[4:5], v[6:7], 1, v[4:5]
	v_mul_lo_u32 v6, s27, v18
	;; [unrolled: 3-line block ×4, first 2 shown]
	v_ashrrev_i32_e32 v7, 31, v6
	s_mov_b32 s72, 0
	v_lshl_add_u64 v[6:7], v[6:7], 1, s[60:61]
	v_mov_b32_e32 v20, 0
	s_branch .LBB7_6
.LBB7_5:                                ;   in Loop: Header=BB7_6 Depth=2
	s_add_i32 s72, s72, 1
	s_cmp_eq_u32 s72, s20
	v_lshl_add_u64 v[4:5], s[52:53], 1, v[4:5]
	s_cbranch_scc1 .LBB7_15
.LBB7_6:                                ;   Parent Loop BB7_3 Depth=1
                                        ; =>  This Loop Header: Depth=2
                                        ;       Child Loop BB7_9 Depth 3
                                        ;         Child Loop BB7_12 Depth 4
	s_andn2_b64 vcc, exec, s[46:47]
	s_cbranch_vccnz .LBB7_5
; %bb.7:                                ;   in Loop: Header=BB7_6 Depth=2
	v_add_u32_e32 v21, s72, v19
	v_cmp_lt_i32_e64 s[0:1], -1, v21
	v_cmp_gt_i32_e64 s[2:3], s9, v21
	s_mov_b32 s73, 0
	s_branch .LBB7_9
.LBB7_8:                                ;   in Loop: Header=BB7_9 Depth=3
	s_add_i32 s73, s73, 1
	s_cmp_eq_u32 s73, s21
	v_lshl_add_u64 v[4:5], s[50:51], 1, v[4:5]
	s_cbranch_scc1 .LBB7_5
.LBB7_9:                                ;   Parent Loop BB7_3 Depth=1
                                        ;     Parent Loop BB7_6 Depth=2
                                        ; =>    This Loop Header: Depth=3
                                        ;         Child Loop BB7_12 Depth 4
	s_andn2_b64 vcc, exec, s[48:49]
	s_cbranch_vccnz .LBB7_8
; %bb.10:                               ;   in Loop: Header=BB7_9 Depth=3
	v_add_u32_e32 v21, s73, v18
	v_cmp_lt_i32_e32 vcc, -1, v21
	s_and_b64 s[62:63], s[0:1], vcc
	v_cmp_gt_i32_e32 vcc, s10, v21
	v_mov_b32_e32 v21, v17
	s_mov_b32 s74, s22
	s_branch .LBB7_12
.LBB7_11:                               ;   in Loop: Header=BB7_12 Depth=4
	s_or_b64 exec, exec, s[4:5]
	s_add_i32 s74, s74, -1
	v_lshl_add_u64 v[6:7], v[6:7], 0, 2
	v_lshl_add_u64 v[4:5], v[4:5], 0, 2
	s_cmp_eq_u32 s74, 0
	v_add_u32_e32 v21, 1, v21
	s_cbranch_scc1 .LBB7_8
.LBB7_12:                               ;   Parent Loop BB7_3 Depth=1
                                        ;     Parent Loop BB7_6 Depth=2
                                        ;       Parent Loop BB7_9 Depth=3
                                        ; =>      This Inner Loop Header: Depth=4
	v_cmp_lt_i32_e64 s[4:5], -1, v21
	s_and_b64 s[4:5], s[62:63], s[4:5]
	s_and_b64 s[4:5], s[4:5], s[2:3]
	s_and_b64 s[76:77], s[4:5], vcc
	v_cmp_gt_i32_e64 s[4:5], s11, v21
	s_and_b64 s[76:77], s[76:77], s[4:5]
	s_and_saveexec_b64 s[4:5], s[76:77]
	s_cbranch_execz .LBB7_11
; %bb.13:                               ;   in Loop: Header=BB7_12 Depth=4
	global_load_ushort v22, v[6:7], off
	global_load_ushort v23, v[4:5], off
	s_waitcnt vmcnt(0)
	v_fma_mix_f32 v20, v22, v23, v20 op_sel_hi:[1,1,0]
	s_branch .LBB7_11
.LBB7_14:                               ;   in Loop: Header=BB7_3 Depth=1
	v_mov_b32_e32 v20, 0
.LBB7_15:                               ;   in Loop: Header=BB7_3 Depth=1
	s_and_b64 vcc, exec, s[54:55]
	s_cbranch_vccz .LBB7_2
; %bb.16:                               ;   in Loop: Header=BB7_3 Depth=1
	v_lshl_add_u64 v[4:5], v[2:3], 1, s[38:39]
	global_load_ushort v3, v[4:5], off
	s_waitcnt vmcnt(0)
	v_cvt_f32_f16_e32 v3, v3
	v_add_f32_e32 v20, v20, v3
	s_branch .LBB7_2
.LBB7_17:
	s_endpgm
	.section	.rodata,"a",@progbits
	.p2align	6, 0x0
	.amdhsa_kernel _ZN2at6native12_GLOBAL__N_128conv_depthwise3d_cuda_kernelIN3c104HalfEfLin1ELin1ELin1ELi1ELi1ELi1EEEvN5torch10headeronly6detail27GenericPackedTensorAccessorINS7_14TensorAccessorINS3_8ArrayRefIlEEKT_Lm4ENS6_16DefaultPtrTraitsEiEENS_6detail16IndexBoundsCheckILm5EiEESD_Lm5ESE_iEENS8_INS9_ISB_SC_Lm4ESE_iEESI_SC_Lm5ESE_iEESJ_PSD_iiiiiiiii
		.amdhsa_group_segment_fixed_size 0
		.amdhsa_private_segment_fixed_size 0
		.amdhsa_kernarg_size 448
		.amdhsa_user_sgpr_count 2
		.amdhsa_user_sgpr_dispatch_ptr 0
		.amdhsa_user_sgpr_queue_ptr 0
		.amdhsa_user_sgpr_kernarg_segment_ptr 1
		.amdhsa_user_sgpr_dispatch_id 0
		.amdhsa_user_sgpr_kernarg_preload_length 0
		.amdhsa_user_sgpr_kernarg_preload_offset 0
		.amdhsa_user_sgpr_private_segment_size 0
		.amdhsa_uses_dynamic_stack 0
		.amdhsa_enable_private_segment 0
		.amdhsa_system_sgpr_workgroup_id_x 1
		.amdhsa_system_sgpr_workgroup_id_y 0
		.amdhsa_system_sgpr_workgroup_id_z 0
		.amdhsa_system_sgpr_workgroup_info 0
		.amdhsa_system_vgpr_workitem_id 0
		.amdhsa_next_free_vgpr 24
		.amdhsa_next_free_sgpr 78
		.amdhsa_accum_offset 24
		.amdhsa_reserve_vcc 1
		.amdhsa_float_round_mode_32 0
		.amdhsa_float_round_mode_16_64 0
		.amdhsa_float_denorm_mode_32 3
		.amdhsa_float_denorm_mode_16_64 3
		.amdhsa_dx10_clamp 1
		.amdhsa_ieee_mode 1
		.amdhsa_fp16_overflow 0
		.amdhsa_tg_split 0
		.amdhsa_exception_fp_ieee_invalid_op 0
		.amdhsa_exception_fp_denorm_src 0
		.amdhsa_exception_fp_ieee_div_zero 0
		.amdhsa_exception_fp_ieee_overflow 0
		.amdhsa_exception_fp_ieee_underflow 0
		.amdhsa_exception_fp_ieee_inexact 0
		.amdhsa_exception_int_div_zero 0
	.end_amdhsa_kernel
	.section	.text._ZN2at6native12_GLOBAL__N_128conv_depthwise3d_cuda_kernelIN3c104HalfEfLin1ELin1ELin1ELi1ELi1ELi1EEEvN5torch10headeronly6detail27GenericPackedTensorAccessorINS7_14TensorAccessorINS3_8ArrayRefIlEEKT_Lm4ENS6_16DefaultPtrTraitsEiEENS_6detail16IndexBoundsCheckILm5EiEESD_Lm5ESE_iEENS8_INS9_ISB_SC_Lm4ESE_iEESI_SC_Lm5ESE_iEESJ_PSD_iiiiiiiii,"axG",@progbits,_ZN2at6native12_GLOBAL__N_128conv_depthwise3d_cuda_kernelIN3c104HalfEfLin1ELin1ELin1ELi1ELi1ELi1EEEvN5torch10headeronly6detail27GenericPackedTensorAccessorINS7_14TensorAccessorINS3_8ArrayRefIlEEKT_Lm4ENS6_16DefaultPtrTraitsEiEENS_6detail16IndexBoundsCheckILm5EiEESD_Lm5ESE_iEENS8_INS9_ISB_SC_Lm4ESE_iEESI_SC_Lm5ESE_iEESJ_PSD_iiiiiiiii,comdat
.Lfunc_end7:
	.size	_ZN2at6native12_GLOBAL__N_128conv_depthwise3d_cuda_kernelIN3c104HalfEfLin1ELin1ELin1ELi1ELi1ELi1EEEvN5torch10headeronly6detail27GenericPackedTensorAccessorINS7_14TensorAccessorINS3_8ArrayRefIlEEKT_Lm4ENS6_16DefaultPtrTraitsEiEENS_6detail16IndexBoundsCheckILm5EiEESD_Lm5ESE_iEENS8_INS9_ISB_SC_Lm4ESE_iEESI_SC_Lm5ESE_iEESJ_PSD_iiiiiiiii, .Lfunc_end7-_ZN2at6native12_GLOBAL__N_128conv_depthwise3d_cuda_kernelIN3c104HalfEfLin1ELin1ELin1ELi1ELi1ELi1EEEvN5torch10headeronly6detail27GenericPackedTensorAccessorINS7_14TensorAccessorINS3_8ArrayRefIlEEKT_Lm4ENS6_16DefaultPtrTraitsEiEENS_6detail16IndexBoundsCheckILm5EiEESD_Lm5ESE_iEENS8_INS9_ISB_SC_Lm4ESE_iEESI_SC_Lm5ESE_iEESJ_PSD_iiiiiiiii
                                        ; -- End function
	.set _ZN2at6native12_GLOBAL__N_128conv_depthwise3d_cuda_kernelIN3c104HalfEfLin1ELin1ELin1ELi1ELi1ELi1EEEvN5torch10headeronly6detail27GenericPackedTensorAccessorINS7_14TensorAccessorINS3_8ArrayRefIlEEKT_Lm4ENS6_16DefaultPtrTraitsEiEENS_6detail16IndexBoundsCheckILm5EiEESD_Lm5ESE_iEENS8_INS9_ISB_SC_Lm4ESE_iEESI_SC_Lm5ESE_iEESJ_PSD_iiiiiiiii.num_vgpr, 24
	.set _ZN2at6native12_GLOBAL__N_128conv_depthwise3d_cuda_kernelIN3c104HalfEfLin1ELin1ELin1ELi1ELi1ELi1EEEvN5torch10headeronly6detail27GenericPackedTensorAccessorINS7_14TensorAccessorINS3_8ArrayRefIlEEKT_Lm4ENS6_16DefaultPtrTraitsEiEENS_6detail16IndexBoundsCheckILm5EiEESD_Lm5ESE_iEENS8_INS9_ISB_SC_Lm4ESE_iEESI_SC_Lm5ESE_iEESJ_PSD_iiiiiiiii.num_agpr, 0
	.set _ZN2at6native12_GLOBAL__N_128conv_depthwise3d_cuda_kernelIN3c104HalfEfLin1ELin1ELin1ELi1ELi1ELi1EEEvN5torch10headeronly6detail27GenericPackedTensorAccessorINS7_14TensorAccessorINS3_8ArrayRefIlEEKT_Lm4ENS6_16DefaultPtrTraitsEiEENS_6detail16IndexBoundsCheckILm5EiEESD_Lm5ESE_iEENS8_INS9_ISB_SC_Lm4ESE_iEESI_SC_Lm5ESE_iEESJ_PSD_iiiiiiiii.numbered_sgpr, 78
	.set _ZN2at6native12_GLOBAL__N_128conv_depthwise3d_cuda_kernelIN3c104HalfEfLin1ELin1ELin1ELi1ELi1ELi1EEEvN5torch10headeronly6detail27GenericPackedTensorAccessorINS7_14TensorAccessorINS3_8ArrayRefIlEEKT_Lm4ENS6_16DefaultPtrTraitsEiEENS_6detail16IndexBoundsCheckILm5EiEESD_Lm5ESE_iEENS8_INS9_ISB_SC_Lm4ESE_iEESI_SC_Lm5ESE_iEESJ_PSD_iiiiiiiii.num_named_barrier, 0
	.set _ZN2at6native12_GLOBAL__N_128conv_depthwise3d_cuda_kernelIN3c104HalfEfLin1ELin1ELin1ELi1ELi1ELi1EEEvN5torch10headeronly6detail27GenericPackedTensorAccessorINS7_14TensorAccessorINS3_8ArrayRefIlEEKT_Lm4ENS6_16DefaultPtrTraitsEiEENS_6detail16IndexBoundsCheckILm5EiEESD_Lm5ESE_iEENS8_INS9_ISB_SC_Lm4ESE_iEESI_SC_Lm5ESE_iEESJ_PSD_iiiiiiiii.private_seg_size, 0
	.set _ZN2at6native12_GLOBAL__N_128conv_depthwise3d_cuda_kernelIN3c104HalfEfLin1ELin1ELin1ELi1ELi1ELi1EEEvN5torch10headeronly6detail27GenericPackedTensorAccessorINS7_14TensorAccessorINS3_8ArrayRefIlEEKT_Lm4ENS6_16DefaultPtrTraitsEiEENS_6detail16IndexBoundsCheckILm5EiEESD_Lm5ESE_iEENS8_INS9_ISB_SC_Lm4ESE_iEESI_SC_Lm5ESE_iEESJ_PSD_iiiiiiiii.uses_vcc, 1
	.set _ZN2at6native12_GLOBAL__N_128conv_depthwise3d_cuda_kernelIN3c104HalfEfLin1ELin1ELin1ELi1ELi1ELi1EEEvN5torch10headeronly6detail27GenericPackedTensorAccessorINS7_14TensorAccessorINS3_8ArrayRefIlEEKT_Lm4ENS6_16DefaultPtrTraitsEiEENS_6detail16IndexBoundsCheckILm5EiEESD_Lm5ESE_iEENS8_INS9_ISB_SC_Lm4ESE_iEESI_SC_Lm5ESE_iEESJ_PSD_iiiiiiiii.uses_flat_scratch, 0
	.set _ZN2at6native12_GLOBAL__N_128conv_depthwise3d_cuda_kernelIN3c104HalfEfLin1ELin1ELin1ELi1ELi1ELi1EEEvN5torch10headeronly6detail27GenericPackedTensorAccessorINS7_14TensorAccessorINS3_8ArrayRefIlEEKT_Lm4ENS6_16DefaultPtrTraitsEiEENS_6detail16IndexBoundsCheckILm5EiEESD_Lm5ESE_iEENS8_INS9_ISB_SC_Lm4ESE_iEESI_SC_Lm5ESE_iEESJ_PSD_iiiiiiiii.has_dyn_sized_stack, 0
	.set _ZN2at6native12_GLOBAL__N_128conv_depthwise3d_cuda_kernelIN3c104HalfEfLin1ELin1ELin1ELi1ELi1ELi1EEEvN5torch10headeronly6detail27GenericPackedTensorAccessorINS7_14TensorAccessorINS3_8ArrayRefIlEEKT_Lm4ENS6_16DefaultPtrTraitsEiEENS_6detail16IndexBoundsCheckILm5EiEESD_Lm5ESE_iEENS8_INS9_ISB_SC_Lm4ESE_iEESI_SC_Lm5ESE_iEESJ_PSD_iiiiiiiii.has_recursion, 0
	.set _ZN2at6native12_GLOBAL__N_128conv_depthwise3d_cuda_kernelIN3c104HalfEfLin1ELin1ELin1ELi1ELi1ELi1EEEvN5torch10headeronly6detail27GenericPackedTensorAccessorINS7_14TensorAccessorINS3_8ArrayRefIlEEKT_Lm4ENS6_16DefaultPtrTraitsEiEENS_6detail16IndexBoundsCheckILm5EiEESD_Lm5ESE_iEENS8_INS9_ISB_SC_Lm4ESE_iEESI_SC_Lm5ESE_iEESJ_PSD_iiiiiiiii.has_indirect_call, 0
	.section	.AMDGPU.csdata,"",@progbits
; Kernel info:
; codeLenInByte = 1652
; TotalNumSgprs: 84
; NumVgprs: 24
; NumAgprs: 0
; TotalNumVgprs: 24
; ScratchSize: 0
; MemoryBound: 0
; FloatMode: 240
; IeeeMode: 1
; LDSByteSize: 0 bytes/workgroup (compile time only)
; SGPRBlocks: 10
; VGPRBlocks: 2
; NumSGPRsForWavesPerEU: 84
; NumVGPRsForWavesPerEU: 24
; AccumOffset: 24
; Occupancy: 8
; WaveLimiterHint : 0
; COMPUTE_PGM_RSRC2:SCRATCH_EN: 0
; COMPUTE_PGM_RSRC2:USER_SGPR: 2
; COMPUTE_PGM_RSRC2:TRAP_HANDLER: 0
; COMPUTE_PGM_RSRC2:TGID_X_EN: 1
; COMPUTE_PGM_RSRC2:TGID_Y_EN: 0
; COMPUTE_PGM_RSRC2:TGID_Z_EN: 0
; COMPUTE_PGM_RSRC2:TIDIG_COMP_CNT: 0
; COMPUTE_PGM_RSRC3_GFX90A:ACCUM_OFFSET: 5
; COMPUTE_PGM_RSRC3_GFX90A:TG_SPLIT: 0
	.section	.text._ZN2at6native12_GLOBAL__N_128conv_depthwise3d_cuda_kernelIN3c104HalfEfLin1ELin1ELin1ELin1ELin1ELin1EEEvN5torch10headeronly6detail27GenericPackedTensorAccessorINS7_14TensorAccessorINS3_8ArrayRefIlEEKT_Lm4ENS6_16DefaultPtrTraitsEiEENS_6detail16IndexBoundsCheckILm5EiEESD_Lm5ESE_iEENS8_INS9_ISB_SC_Lm4ESE_iEESI_SC_Lm5ESE_iEESJ_PSD_iiiiiiiii,"axG",@progbits,_ZN2at6native12_GLOBAL__N_128conv_depthwise3d_cuda_kernelIN3c104HalfEfLin1ELin1ELin1ELin1ELin1ELin1EEEvN5torch10headeronly6detail27GenericPackedTensorAccessorINS7_14TensorAccessorINS3_8ArrayRefIlEEKT_Lm4ENS6_16DefaultPtrTraitsEiEENS_6detail16IndexBoundsCheckILm5EiEESD_Lm5ESE_iEENS8_INS9_ISB_SC_Lm4ESE_iEESI_SC_Lm5ESE_iEESJ_PSD_iiiiiiiii,comdat
	.globl	_ZN2at6native12_GLOBAL__N_128conv_depthwise3d_cuda_kernelIN3c104HalfEfLin1ELin1ELin1ELin1ELin1ELin1EEEvN5torch10headeronly6detail27GenericPackedTensorAccessorINS7_14TensorAccessorINS3_8ArrayRefIlEEKT_Lm4ENS6_16DefaultPtrTraitsEiEENS_6detail16IndexBoundsCheckILm5EiEESD_Lm5ESE_iEENS8_INS9_ISB_SC_Lm4ESE_iEESI_SC_Lm5ESE_iEESJ_PSD_iiiiiiiii ; -- Begin function _ZN2at6native12_GLOBAL__N_128conv_depthwise3d_cuda_kernelIN3c104HalfEfLin1ELin1ELin1ELin1ELin1ELin1EEEvN5torch10headeronly6detail27GenericPackedTensorAccessorINS7_14TensorAccessorINS3_8ArrayRefIlEEKT_Lm4ENS6_16DefaultPtrTraitsEiEENS_6detail16IndexBoundsCheckILm5EiEESD_Lm5ESE_iEENS8_INS9_ISB_SC_Lm4ESE_iEESI_SC_Lm5ESE_iEESJ_PSD_iiiiiiiii
	.p2align	8
	.type	_ZN2at6native12_GLOBAL__N_128conv_depthwise3d_cuda_kernelIN3c104HalfEfLin1ELin1ELin1ELin1ELin1ELin1EEEvN5torch10headeronly6detail27GenericPackedTensorAccessorINS7_14TensorAccessorINS3_8ArrayRefIlEEKT_Lm4ENS6_16DefaultPtrTraitsEiEENS_6detail16IndexBoundsCheckILm5EiEESD_Lm5ESE_iEENS8_INS9_ISB_SC_Lm4ESE_iEESI_SC_Lm5ESE_iEESJ_PSD_iiiiiiiii,@function
_ZN2at6native12_GLOBAL__N_128conv_depthwise3d_cuda_kernelIN3c104HalfEfLin1ELin1ELin1ELin1ELin1ELin1EEEvN5torch10headeronly6detail27GenericPackedTensorAccessorINS7_14TensorAccessorINS3_8ArrayRefIlEEKT_Lm4ENS6_16DefaultPtrTraitsEiEENS_6detail16IndexBoundsCheckILm5EiEESD_Lm5ESE_iEENS8_INS9_ISB_SC_Lm4ESE_iEESI_SC_Lm5ESE_iEESJ_PSD_iiiiiiiii: ; @_ZN2at6native12_GLOBAL__N_128conv_depthwise3d_cuda_kernelIN3c104HalfEfLin1ELin1ELin1ELin1ELin1ELin1EEEvN5torch10headeronly6detail27GenericPackedTensorAccessorINS7_14TensorAccessorINS3_8ArrayRefIlEEKT_Lm4ENS6_16DefaultPtrTraitsEiEENS_6detail16IndexBoundsCheckILm5EiEESD_Lm5ESE_iEENS8_INS9_ISB_SC_Lm4ESE_iEESI_SC_Lm5ESE_iEESJ_PSD_iiiiiiiii
; %bb.0:
	s_load_dwordx4 s[16:19], s[0:1], 0xc
	s_load_dwordx4 s[20:23], s[0:1], 0x38
	s_load_dwordx2 s[6:7], s[0:1], 0x48
	s_load_dword s4, s[0:1], 0xcc
	v_mov_b32_e32 v3, s2
	s_waitcnt lgkmcnt(0)
	s_abs_i32 s5, s16
	v_cvt_f32_u32_e32 v2, s5
	s_add_u32 s2, s0, 0xc0
	v_mov_b32_e32 v1, 0
	s_mul_i32 s34, s7, s20
	v_rcp_iflag_f32_e32 v2, v2
	s_addc_u32 s3, s1, 0
	s_and_b32 s4, s4, 0xffff
	v_mad_u64_u32 v[0:1], s[8:9], s4, v3, v[0:1]
	v_mul_f32_e32 v2, 0x4f7ffffe, v2
	v_cvt_u32_f32_e32 v2, v2
	s_ashr_i32 s35, s34, 31
	v_cmp_gt_i64_e32 vcc, s[34:35], v[0:1]
	v_readfirstlane_b32 s8, v2
	s_and_saveexec_b64 s[10:11], vcc
	s_cbranch_execz .LBB8_17
; %bb.1:
	s_sub_i32 s9, 0, s5
	s_mul_i32 s9, s9, s8
	s_mul_hi_u32 s9, s8, s9
	s_ashr_i32 s28, s16, 31
	s_abs_i32 s16, s21
	s_add_i32 s8, s8, s9
	s_ashr_i32 s20, s21, 31
	s_mul_hi_u32 s29, s16, s8
	s_load_dwordx2 s[42:43], s[0:1], 0x90
	s_load_dwordx8 s[8:15], s[0:1], 0x98
	s_load_dword s44, s[0:1], 0xb8
	s_load_dwordx4 s[24:27], s[0:1], 0x70
	s_waitcnt lgkmcnt(0)
	s_xor_b32 s27, s20, s28
	s_mul_i32 s28, s29, s5
	s_sub_i32 s28, s16, s28
	s_add_i32 s30, s29, 1
	s_sub_i32 s31, s28, s5
	s_cmp_ge_u32 s28, s5
	s_cselect_b32 s29, s30, s29
	s_cselect_b32 s28, s31, s28
	s_add_i32 s30, s29, 1
	s_cmp_ge_u32 s28, s5
	s_cselect_b32 s5, s30, s29
	s_xor_b32 s5, s5, s27
	s_sub_i32 s5, s5, s27
	s_cmp_gt_i32 s24, 0
	s_cselect_b64 s[48:49], -1, 0
	s_cmp_gt_i32 s25, 0
	s_load_dword s40, s[2:3], 0x0
	s_load_dword s27, s[0:1], 0x7c
	s_load_dwordx2 s[46:47], s[0:1], 0x0
	s_load_dwordx4 s[28:31], s[0:1], 0x1c
	s_cselect_b64 s[50:51], -1, 0
	s_cmp_gt_i32 s26, 0
	s_mul_i32 s2, s19, s15
	s_mul_i32 s3, s26, s44
	s_cselect_b64 s[52:53], -1, 0
	s_sub_i32 s54, s2, s3
	s_mul_i32 s2, s18, s14
	s_mul_i32 s3, s25, s15
	s_sub_i32 s2, s2, s3
	s_mul_i32 s56, s2, s19
	s_ashr_i32 s45, s44, 31
	s_ashr_i32 s55, s54, 31
	;; [unrolled: 1-line block ×3, first 2 shown]
	s_cmp_lg_u64 s[42:43], 0
	s_cselect_b64 s[58:59], -1, 0
	s_abs_i32 s33, s6
	v_cvt_f32_u32_e32 v2, s33
	s_abs_i32 s71, s23
	v_cvt_f32_u32_e32 v3, s71
	s_load_dword s70, s[0:1], 0x2c
	s_load_dwordx2 s[60:61], s[0:1], 0x30
	v_rcp_iflag_f32_e32 v2, v2
	s_load_dwordx2 s[64:65], s[0:1], 0x60
	s_load_dwordx4 s[36:39], s[0:1], 0x50
	v_rcp_iflag_f32_e32 v3, v3
	s_sub_i32 s0, 0, s33
	v_mul_f32_e32 v2, 0x4f7ffffe, v2
	v_cvt_u32_f32_e32 v2, v2
	s_abs_i32 s73, s22
	s_abs_i32 s76, s5
	v_cvt_f32_u32_e32 v5, s76
	v_mul_lo_u32 v4, s0, v2
	v_mul_hi_u32 v4, v2, v4
	v_add_u32_e32 v8, v2, v4
	v_mul_f32_e32 v2, 0x4f7ffffe, v3
	v_cvt_f32_u32_e32 v3, s73
	v_cvt_u32_f32_e32 v2, v2
	s_sub_i32 s0, 0, s71
	s_mov_b32 s41, 0
	v_rcp_iflag_f32_e32 v3, v3
	v_mul_lo_u32 v4, s0, v2
	v_mul_hi_u32 v4, v2, v4
	v_add_u32_e32 v9, v2, v4
	v_mul_f32_e32 v2, 0x4f7ffffe, v3
	v_cvt_u32_f32_e32 v2, v2
	v_cvt_f32_u32_e32 v3, s16
	s_sub_i32 s0, 0, s73
	s_mov_b64 s[62:63], 0
	v_mul_lo_u32 v4, s0, v2
	v_rcp_iflag_f32_e32 v3, v3
	v_mul_hi_u32 v4, v2, v4
	v_add_u32_e32 v10, v2, v4
	v_rcp_iflag_f32_e32 v2, v5
	v_mul_f32_e32 v3, 0x4f7ffffe, v3
	v_cvt_u32_f32_e32 v3, v3
	s_sub_i32 s0, 0, s16
	v_mul_f32_e32 v2, 0x4f7ffffe, v2
	v_cvt_u32_f32_e32 v2, v2
	v_mul_lo_u32 v4, s0, v3
	v_mul_hi_u32 v4, v3, v4
	s_sub_i32 s0, 0, s76
	v_add_u32_e32 v11, v3, v4
	v_mul_lo_u32 v3, s0, v2
	v_mul_hi_u32 v3, v2, v3
	s_waitcnt lgkmcnt(0)
	s_mul_i32 s40, s40, s4
	s_ashr_i32 s72, s6, 31
	s_ashr_i32 s74, s23, 31
	;; [unrolled: 1-line block ×4, first 2 shown]
	v_add_u32_e32 v12, v2, v3
	s_lshl_b64 s[66:67], s[44:45], 1
	s_branch .LBB8_3
.LBB8_2:                                ;   in Loop: Header=BB8_3 Depth=1
	v_mul_lo_u32 v4, v16, s7
	v_ashrrev_i32_e32 v5, 31, v4
	v_mul_lo_u32 v2, s36, v2
	v_lshl_add_u64 v[4:5], v[4:5], 1, s[60:61]
	v_ashrrev_i32_e32 v3, 31, v2
	v_lshl_add_u64 v[2:3], v[2:3], 1, v[4:5]
	v_mul_lo_u32 v4, s37, v15
	v_ashrrev_i32_e32 v5, 31, v4
	v_lshl_add_u64 v[2:3], v[4:5], 1, v[2:3]
	v_mul_lo_u32 v4, s38, v14
	v_cvt_f16_f32_e32 v6, v20
	v_ashrrev_i32_e32 v5, 31, v4
	v_lshl_add_u64 v[2:3], v[4:5], 1, v[2:3]
	v_mul_lo_u32 v4, s39, v13
	v_lshl_add_u64 v[0:1], v[0:1], 0, s[40:41]
	v_ashrrev_i32_e32 v5, 31, v4
	v_cmp_le_i64_e32 vcc, s[34:35], v[0:1]
	v_lshl_add_u64 v[2:3], v[4:5], 1, v[2:3]
	s_or_b64 s[62:63], vcc, s[62:63]
	global_store_short v[2:3], v6, off
	s_andn2_b64 exec, exec, s[62:63]
	s_cbranch_execz .LBB8_17
.LBB8_3:                                ; =>This Loop Header: Depth=1
                                        ;     Child Loop BB8_6 Depth 2
                                        ;       Child Loop BB8_9 Depth 3
                                        ;         Child Loop BB8_12 Depth 4
	v_sub_u32_e32 v3, 0, v0
	v_max_i32_e32 v3, v0, v3
	v_mul_hi_u32 v4, v3, v8
	v_mul_lo_u32 v5, v4, s33
	v_sub_u32_e32 v3, v3, v5
	v_add_u32_e32 v5, 1, v4
	v_cmp_le_u32_e32 vcc, s33, v3
	v_ashrrev_i32_e32 v2, 31, v0
	v_xor_b32_e32 v2, s72, v2
	v_cndmask_b32_e32 v4, v4, v5, vcc
	v_subrev_u32_e32 v5, s33, v3
	v_cndmask_b32_e32 v3, v3, v5, vcc
	v_add_u32_e32 v5, 1, v4
	v_cmp_le_u32_e32 vcc, s33, v3
	s_nop 1
	v_cndmask_b32_e32 v3, v4, v5, vcc
	v_xor_b32_e32 v3, v3, v2
	v_sub_u32_e32 v2, v3, v2
	v_sub_u32_e32 v4, 0, v2
	v_max_i32_e32 v4, v2, v4
	v_mul_hi_u32 v5, v4, v9
	v_mul_lo_u32 v6, v5, s71
	v_sub_u32_e32 v4, v4, v6
	v_add_u32_e32 v6, 1, v5
	v_cmp_le_u32_e32 vcc, s71, v4
	v_mul_lo_u32 v3, v2, s6
	v_sub_u32_e32 v13, v0, v3
	v_cndmask_b32_e32 v5, v5, v6, vcc
	v_subrev_u32_e32 v6, s71, v4
	v_cndmask_b32_e32 v4, v4, v6, vcc
	v_ashrrev_i32_e32 v3, 31, v2
	v_add_u32_e32 v6, 1, v5
	v_cmp_le_u32_e32 vcc, s71, v4
	v_xor_b32_e32 v3, s74, v3
	s_nop 0
	v_cndmask_b32_e32 v4, v5, v6, vcc
	v_xor_b32_e32 v4, v4, v3
	v_sub_u32_e32 v3, v4, v3
	v_mul_lo_u32 v4, v3, s23
	v_sub_u32_e32 v14, v2, v4
	v_sub_u32_e32 v4, 0, v3
	v_max_i32_e32 v4, v3, v4
	v_mul_hi_u32 v5, v4, v10
	v_mul_lo_u32 v6, v5, s73
	v_sub_u32_e32 v4, v4, v6
	v_add_u32_e32 v6, 1, v5
	v_cmp_le_u32_e32 vcc, s73, v4
	v_ashrrev_i32_e32 v2, 31, v3
	v_xor_b32_e32 v2, s75, v2
	v_cndmask_b32_e32 v5, v5, v6, vcc
	v_subrev_u32_e32 v6, s73, v4
	v_cndmask_b32_e32 v4, v4, v6, vcc
	v_add_u32_e32 v6, 1, v5
	v_cmp_le_u32_e32 vcc, s73, v4
	s_nop 1
	v_cndmask_b32_e32 v4, v5, v6, vcc
	v_xor_b32_e32 v4, v4, v2
	v_sub_u32_e32 v2, v4, v2
	v_mul_lo_u32 v4, v2, s22
	v_sub_u32_e32 v15, v3, v4
	v_sub_u32_e32 v4, 0, v2
	v_max_i32_e32 v4, v2, v4
	v_mul_hi_u32 v5, v4, v11
	v_mul_lo_u32 v6, v5, s16
	v_sub_u32_e32 v4, v4, v6
	v_add_u32_e32 v6, 1, v5
	v_cmp_le_u32_e32 vcc, s16, v4
	v_ashrrev_i32_e32 v3, 31, v2
	v_xor_b32_e32 v3, s20, v3
	v_cndmask_b32_e32 v5, v5, v6, vcc
	v_subrev_u32_e32 v6, s16, v4
	v_cndmask_b32_e32 v4, v4, v6, vcc
	v_add_u32_e32 v6, 1, v5
	v_cmp_le_u32_e32 vcc, s16, v4
	s_nop 1
	v_cndmask_b32_e32 v4, v5, v6, vcc
	v_xor_b32_e32 v4, v4, v3
	v_sub_u32_e32 v16, v4, v3
	v_mul_lo_u32 v3, v16, s21
	v_sub_u32_e32 v2, v2, v3
	s_andn2_b64 vcc, exec, s[48:49]
	v_ashrrev_i32_e32 v3, 31, v2
	s_cbranch_vccnz .LBB8_14
; %bb.4:                                ;   in Loop: Header=BB8_3 Depth=1
	v_sub_u32_e32 v7, 0, v2
	v_max_i32_e32 v7, v2, v7
	v_mul_hi_u32 v20, v7, v12
	v_mul_lo_u32 v21, v20, s76
	v_sub_u32_e32 v7, v7, v21
	v_add_u32_e32 v21, 1, v20
	v_cmp_le_u32_e32 vcc, s76, v7
	v_mul_lo_u32 v4, v13, s10
	v_subrev_u32_e32 v17, s13, v4
	v_cndmask_b32_e32 v20, v20, v21, vcc
	v_subrev_u32_e32 v21, s76, v7
	v_cndmask_b32_e32 v7, v7, v21, vcc
	v_add_u32_e32 v21, 1, v20
	v_cmp_le_u32_e32 vcc, s76, v7
	v_mul_lo_u32 v4, v14, s9
	v_xor_b32_e32 v6, s77, v3
	v_cndmask_b32_e32 v7, v20, v21, vcc
	v_subrev_u32_e32 v18, s12, v4
	v_mul_lo_u32 v4, v15, s8
	v_xor_b32_e32 v7, v7, v6
	v_subrev_u32_e32 v19, s11, v4
	v_mul_lo_u32 v4, s28, v16
	v_sub_u32_e32 v6, v7, v6
	v_ashrrev_i32_e32 v5, 31, v4
	v_mul_lo_u32 v6, s29, v6
	v_lshl_add_u64 v[4:5], v[4:5], 1, s[46:47]
	v_ashrrev_i32_e32 v7, 31, v6
	v_lshl_add_u64 v[4:5], v[6:7], 1, v[4:5]
	v_mul_lo_u32 v6, s30, v19
	v_ashrrev_i32_e32 v7, 31, v6
	v_lshl_add_u64 v[4:5], v[6:7], 1, v[4:5]
	v_mul_lo_u32 v6, s31, v18
	;; [unrolled: 3-line block ×4, first 2 shown]
	v_ashrrev_i32_e32 v7, 31, v6
	s_mov_b32 s45, 0
	v_lshl_add_u64 v[6:7], v[6:7], 1, s[64:65]
	v_mov_b32_e32 v20, 0
	s_branch .LBB8_6
.LBB8_5:                                ;   in Loop: Header=BB8_6 Depth=2
	s_add_i32 s45, s45, 1
	s_cmp_eq_u32 s45, s24
	v_lshl_add_u64 v[4:5], s[56:57], 1, v[4:5]
	s_cbranch_scc1 .LBB8_15
.LBB8_6:                                ;   Parent Loop BB8_3 Depth=1
                                        ; =>  This Loop Header: Depth=2
                                        ;       Child Loop BB8_9 Depth 3
                                        ;         Child Loop BB8_12 Depth 4
	s_andn2_b64 vcc, exec, s[50:51]
	s_cbranch_vccnz .LBB8_5
; %bb.7:                                ;   in Loop: Header=BB8_6 Depth=2
	s_mul_i32 s0, s45, s14
	v_add_u32_e32 v21, s0, v19
	v_cmp_lt_i32_e64 s[0:1], -1, v21
	v_cmp_gt_i32_e64 s[2:3], s17, v21
	s_mov_b32 s78, 0
	s_branch .LBB8_9
.LBB8_8:                                ;   in Loop: Header=BB8_9 Depth=3
	s_add_i32 s78, s78, 1
	s_cmp_eq_u32 s78, s25
	v_lshl_add_u64 v[4:5], s[54:55], 1, v[4:5]
	s_cbranch_scc1 .LBB8_5
.LBB8_9:                                ;   Parent Loop BB8_3 Depth=1
                                        ;     Parent Loop BB8_6 Depth=2
                                        ; =>    This Loop Header: Depth=3
                                        ;         Child Loop BB8_12 Depth 4
	s_andn2_b64 vcc, exec, s[52:53]
	s_cbranch_vccnz .LBB8_8
; %bb.10:                               ;   in Loop: Header=BB8_9 Depth=3
	s_mul_i32 s4, s78, s15
	v_add_u32_e32 v21, s4, v18
	v_cmp_lt_i32_e32 vcc, -1, v21
	s_and_b64 s[68:69], s[0:1], vcc
	v_cmp_gt_i32_e32 vcc, s18, v21
	v_mov_b32_e32 v21, v17
	s_mov_b32 s79, s26
	s_branch .LBB8_12
.LBB8_11:                               ;   in Loop: Header=BB8_12 Depth=4
	s_or_b64 exec, exec, s[4:5]
	s_add_i32 s79, s79, -1
	v_lshl_add_u64 v[6:7], v[6:7], 0, 2
	v_add_u32_e32 v21, s44, v21
	s_cmp_eq_u32 s79, 0
	v_lshl_add_u64 v[4:5], v[4:5], 0, s[66:67]
	s_cbranch_scc1 .LBB8_8
.LBB8_12:                               ;   Parent Loop BB8_3 Depth=1
                                        ;     Parent Loop BB8_6 Depth=2
                                        ;       Parent Loop BB8_9 Depth=3
                                        ; =>      This Inner Loop Header: Depth=4
	v_cmp_lt_i32_e64 s[4:5], -1, v21
	s_and_b64 s[4:5], s[68:69], s[4:5]
	s_and_b64 s[4:5], s[4:5], s[2:3]
	s_and_b64 s[80:81], s[4:5], vcc
	v_cmp_gt_i32_e64 s[4:5], s19, v21
	s_and_b64 s[80:81], s[80:81], s[4:5]
	s_and_saveexec_b64 s[4:5], s[80:81]
	s_cbranch_execz .LBB8_11
; %bb.13:                               ;   in Loop: Header=BB8_12 Depth=4
	global_load_ushort v22, v[6:7], off
	global_load_ushort v23, v[4:5], off
	s_waitcnt vmcnt(0)
	v_fma_mix_f32 v20, v22, v23, v20 op_sel_hi:[1,1,0]
	s_branch .LBB8_11
.LBB8_14:                               ;   in Loop: Header=BB8_3 Depth=1
	v_mov_b32_e32 v20, 0
.LBB8_15:                               ;   in Loop: Header=BB8_3 Depth=1
	s_and_b64 vcc, exec, s[58:59]
	s_cbranch_vccz .LBB8_2
; %bb.16:                               ;   in Loop: Header=BB8_3 Depth=1
	v_lshl_add_u64 v[4:5], v[2:3], 1, s[42:43]
	global_load_ushort v3, v[4:5], off
	s_waitcnt vmcnt(0)
	v_cvt_f32_f16_e32 v3, v3
	v_add_f32_e32 v20, v20, v3
	s_branch .LBB8_2
.LBB8_17:
	s_endpgm
	.section	.rodata,"a",@progbits
	.p2align	6, 0x0
	.amdhsa_kernel _ZN2at6native12_GLOBAL__N_128conv_depthwise3d_cuda_kernelIN3c104HalfEfLin1ELin1ELin1ELin1ELin1ELin1EEEvN5torch10headeronly6detail27GenericPackedTensorAccessorINS7_14TensorAccessorINS3_8ArrayRefIlEEKT_Lm4ENS6_16DefaultPtrTraitsEiEENS_6detail16IndexBoundsCheckILm5EiEESD_Lm5ESE_iEENS8_INS9_ISB_SC_Lm4ESE_iEESI_SC_Lm5ESE_iEESJ_PSD_iiiiiiiii
		.amdhsa_group_segment_fixed_size 0
		.amdhsa_private_segment_fixed_size 0
		.amdhsa_kernarg_size 448
		.amdhsa_user_sgpr_count 2
		.amdhsa_user_sgpr_dispatch_ptr 0
		.amdhsa_user_sgpr_queue_ptr 0
		.amdhsa_user_sgpr_kernarg_segment_ptr 1
		.amdhsa_user_sgpr_dispatch_id 0
		.amdhsa_user_sgpr_kernarg_preload_length 0
		.amdhsa_user_sgpr_kernarg_preload_offset 0
		.amdhsa_user_sgpr_private_segment_size 0
		.amdhsa_uses_dynamic_stack 0
		.amdhsa_enable_private_segment 0
		.amdhsa_system_sgpr_workgroup_id_x 1
		.amdhsa_system_sgpr_workgroup_id_y 0
		.amdhsa_system_sgpr_workgroup_id_z 0
		.amdhsa_system_sgpr_workgroup_info 0
		.amdhsa_system_vgpr_workitem_id 0
		.amdhsa_next_free_vgpr 24
		.amdhsa_next_free_sgpr 82
		.amdhsa_accum_offset 24
		.amdhsa_reserve_vcc 1
		.amdhsa_float_round_mode_32 0
		.amdhsa_float_round_mode_16_64 0
		.amdhsa_float_denorm_mode_32 3
		.amdhsa_float_denorm_mode_16_64 3
		.amdhsa_dx10_clamp 1
		.amdhsa_ieee_mode 1
		.amdhsa_fp16_overflow 0
		.amdhsa_tg_split 0
		.amdhsa_exception_fp_ieee_invalid_op 0
		.amdhsa_exception_fp_denorm_src 0
		.amdhsa_exception_fp_ieee_div_zero 0
		.amdhsa_exception_fp_ieee_overflow 0
		.amdhsa_exception_fp_ieee_underflow 0
		.amdhsa_exception_fp_ieee_inexact 0
		.amdhsa_exception_int_div_zero 0
	.end_amdhsa_kernel
	.section	.text._ZN2at6native12_GLOBAL__N_128conv_depthwise3d_cuda_kernelIN3c104HalfEfLin1ELin1ELin1ELin1ELin1ELin1EEEvN5torch10headeronly6detail27GenericPackedTensorAccessorINS7_14TensorAccessorINS3_8ArrayRefIlEEKT_Lm4ENS6_16DefaultPtrTraitsEiEENS_6detail16IndexBoundsCheckILm5EiEESD_Lm5ESE_iEENS8_INS9_ISB_SC_Lm4ESE_iEESI_SC_Lm5ESE_iEESJ_PSD_iiiiiiiii,"axG",@progbits,_ZN2at6native12_GLOBAL__N_128conv_depthwise3d_cuda_kernelIN3c104HalfEfLin1ELin1ELin1ELin1ELin1ELin1EEEvN5torch10headeronly6detail27GenericPackedTensorAccessorINS7_14TensorAccessorINS3_8ArrayRefIlEEKT_Lm4ENS6_16DefaultPtrTraitsEiEENS_6detail16IndexBoundsCheckILm5EiEESD_Lm5ESE_iEENS8_INS9_ISB_SC_Lm4ESE_iEESI_SC_Lm5ESE_iEESJ_PSD_iiiiiiiii,comdat
.Lfunc_end8:
	.size	_ZN2at6native12_GLOBAL__N_128conv_depthwise3d_cuda_kernelIN3c104HalfEfLin1ELin1ELin1ELin1ELin1ELin1EEEvN5torch10headeronly6detail27GenericPackedTensorAccessorINS7_14TensorAccessorINS3_8ArrayRefIlEEKT_Lm4ENS6_16DefaultPtrTraitsEiEENS_6detail16IndexBoundsCheckILm5EiEESD_Lm5ESE_iEENS8_INS9_ISB_SC_Lm4ESE_iEESI_SC_Lm5ESE_iEESJ_PSD_iiiiiiiii, .Lfunc_end8-_ZN2at6native12_GLOBAL__N_128conv_depthwise3d_cuda_kernelIN3c104HalfEfLin1ELin1ELin1ELin1ELin1ELin1EEEvN5torch10headeronly6detail27GenericPackedTensorAccessorINS7_14TensorAccessorINS3_8ArrayRefIlEEKT_Lm4ENS6_16DefaultPtrTraitsEiEENS_6detail16IndexBoundsCheckILm5EiEESD_Lm5ESE_iEENS8_INS9_ISB_SC_Lm4ESE_iEESI_SC_Lm5ESE_iEESJ_PSD_iiiiiiiii
                                        ; -- End function
	.set _ZN2at6native12_GLOBAL__N_128conv_depthwise3d_cuda_kernelIN3c104HalfEfLin1ELin1ELin1ELin1ELin1ELin1EEEvN5torch10headeronly6detail27GenericPackedTensorAccessorINS7_14TensorAccessorINS3_8ArrayRefIlEEKT_Lm4ENS6_16DefaultPtrTraitsEiEENS_6detail16IndexBoundsCheckILm5EiEESD_Lm5ESE_iEENS8_INS9_ISB_SC_Lm4ESE_iEESI_SC_Lm5ESE_iEESJ_PSD_iiiiiiiii.num_vgpr, 24
	.set _ZN2at6native12_GLOBAL__N_128conv_depthwise3d_cuda_kernelIN3c104HalfEfLin1ELin1ELin1ELin1ELin1ELin1EEEvN5torch10headeronly6detail27GenericPackedTensorAccessorINS7_14TensorAccessorINS3_8ArrayRefIlEEKT_Lm4ENS6_16DefaultPtrTraitsEiEENS_6detail16IndexBoundsCheckILm5EiEESD_Lm5ESE_iEENS8_INS9_ISB_SC_Lm4ESE_iEESI_SC_Lm5ESE_iEESJ_PSD_iiiiiiiii.num_agpr, 0
	.set _ZN2at6native12_GLOBAL__N_128conv_depthwise3d_cuda_kernelIN3c104HalfEfLin1ELin1ELin1ELin1ELin1ELin1EEEvN5torch10headeronly6detail27GenericPackedTensorAccessorINS7_14TensorAccessorINS3_8ArrayRefIlEEKT_Lm4ENS6_16DefaultPtrTraitsEiEENS_6detail16IndexBoundsCheckILm5EiEESD_Lm5ESE_iEENS8_INS9_ISB_SC_Lm4ESE_iEESI_SC_Lm5ESE_iEESJ_PSD_iiiiiiiii.numbered_sgpr, 82
	.set _ZN2at6native12_GLOBAL__N_128conv_depthwise3d_cuda_kernelIN3c104HalfEfLin1ELin1ELin1ELin1ELin1ELin1EEEvN5torch10headeronly6detail27GenericPackedTensorAccessorINS7_14TensorAccessorINS3_8ArrayRefIlEEKT_Lm4ENS6_16DefaultPtrTraitsEiEENS_6detail16IndexBoundsCheckILm5EiEESD_Lm5ESE_iEENS8_INS9_ISB_SC_Lm4ESE_iEESI_SC_Lm5ESE_iEESJ_PSD_iiiiiiiii.num_named_barrier, 0
	.set _ZN2at6native12_GLOBAL__N_128conv_depthwise3d_cuda_kernelIN3c104HalfEfLin1ELin1ELin1ELin1ELin1ELin1EEEvN5torch10headeronly6detail27GenericPackedTensorAccessorINS7_14TensorAccessorINS3_8ArrayRefIlEEKT_Lm4ENS6_16DefaultPtrTraitsEiEENS_6detail16IndexBoundsCheckILm5EiEESD_Lm5ESE_iEENS8_INS9_ISB_SC_Lm4ESE_iEESI_SC_Lm5ESE_iEESJ_PSD_iiiiiiiii.private_seg_size, 0
	.set _ZN2at6native12_GLOBAL__N_128conv_depthwise3d_cuda_kernelIN3c104HalfEfLin1ELin1ELin1ELin1ELin1ELin1EEEvN5torch10headeronly6detail27GenericPackedTensorAccessorINS7_14TensorAccessorINS3_8ArrayRefIlEEKT_Lm4ENS6_16DefaultPtrTraitsEiEENS_6detail16IndexBoundsCheckILm5EiEESD_Lm5ESE_iEENS8_INS9_ISB_SC_Lm4ESE_iEESI_SC_Lm5ESE_iEESJ_PSD_iiiiiiiii.uses_vcc, 1
	.set _ZN2at6native12_GLOBAL__N_128conv_depthwise3d_cuda_kernelIN3c104HalfEfLin1ELin1ELin1ELin1ELin1ELin1EEEvN5torch10headeronly6detail27GenericPackedTensorAccessorINS7_14TensorAccessorINS3_8ArrayRefIlEEKT_Lm4ENS6_16DefaultPtrTraitsEiEENS_6detail16IndexBoundsCheckILm5EiEESD_Lm5ESE_iEENS8_INS9_ISB_SC_Lm4ESE_iEESI_SC_Lm5ESE_iEESJ_PSD_iiiiiiiii.uses_flat_scratch, 0
	.set _ZN2at6native12_GLOBAL__N_128conv_depthwise3d_cuda_kernelIN3c104HalfEfLin1ELin1ELin1ELin1ELin1ELin1EEEvN5torch10headeronly6detail27GenericPackedTensorAccessorINS7_14TensorAccessorINS3_8ArrayRefIlEEKT_Lm4ENS6_16DefaultPtrTraitsEiEENS_6detail16IndexBoundsCheckILm5EiEESD_Lm5ESE_iEENS8_INS9_ISB_SC_Lm4ESE_iEESI_SC_Lm5ESE_iEESJ_PSD_iiiiiiiii.has_dyn_sized_stack, 0
	.set _ZN2at6native12_GLOBAL__N_128conv_depthwise3d_cuda_kernelIN3c104HalfEfLin1ELin1ELin1ELin1ELin1ELin1EEEvN5torch10headeronly6detail27GenericPackedTensorAccessorINS7_14TensorAccessorINS3_8ArrayRefIlEEKT_Lm4ENS6_16DefaultPtrTraitsEiEENS_6detail16IndexBoundsCheckILm5EiEESD_Lm5ESE_iEENS8_INS9_ISB_SC_Lm4ESE_iEESI_SC_Lm5ESE_iEESJ_PSD_iiiiiiiii.has_recursion, 0
	.set _ZN2at6native12_GLOBAL__N_128conv_depthwise3d_cuda_kernelIN3c104HalfEfLin1ELin1ELin1ELin1ELin1ELin1EEEvN5torch10headeronly6detail27GenericPackedTensorAccessorINS7_14TensorAccessorINS3_8ArrayRefIlEEKT_Lm4ENS6_16DefaultPtrTraitsEiEENS_6detail16IndexBoundsCheckILm5EiEESD_Lm5ESE_iEENS8_INS9_ISB_SC_Lm4ESE_iEESI_SC_Lm5ESE_iEESJ_PSD_iiiiiiiii.has_indirect_call, 0
	.section	.AMDGPU.csdata,"",@progbits
; Kernel info:
; codeLenInByte = 1684
; TotalNumSgprs: 88
; NumVgprs: 24
; NumAgprs: 0
; TotalNumVgprs: 24
; ScratchSize: 0
; MemoryBound: 0
; FloatMode: 240
; IeeeMode: 1
; LDSByteSize: 0 bytes/workgroup (compile time only)
; SGPRBlocks: 10
; VGPRBlocks: 2
; NumSGPRsForWavesPerEU: 88
; NumVGPRsForWavesPerEU: 24
; AccumOffset: 24
; Occupancy: 8
; WaveLimiterHint : 0
; COMPUTE_PGM_RSRC2:SCRATCH_EN: 0
; COMPUTE_PGM_RSRC2:USER_SGPR: 2
; COMPUTE_PGM_RSRC2:TRAP_HANDLER: 0
; COMPUTE_PGM_RSRC2:TGID_X_EN: 1
; COMPUTE_PGM_RSRC2:TGID_Y_EN: 0
; COMPUTE_PGM_RSRC2:TGID_Z_EN: 0
; COMPUTE_PGM_RSRC2:TIDIG_COMP_CNT: 0
; COMPUTE_PGM_RSRC3_GFX90A:ACCUM_OFFSET: 5
; COMPUTE_PGM_RSRC3_GFX90A:TG_SPLIT: 0
	.section	.text._ZN2at6native12_GLOBAL__N_128conv_depthwise3d_cuda_kernelIN3c108BFloat16EfLi3ELi3ELi3ELi1ELi1ELi1EEEvN5torch10headeronly6detail27GenericPackedTensorAccessorINS7_14TensorAccessorINS3_8ArrayRefIlEEKT_Lm4ENS6_16DefaultPtrTraitsEiEENS_6detail16IndexBoundsCheckILm5EiEESD_Lm5ESE_iEENS8_INS9_ISB_SC_Lm4ESE_iEESI_SC_Lm5ESE_iEESJ_PSD_iiiiiiiii,"axG",@progbits,_ZN2at6native12_GLOBAL__N_128conv_depthwise3d_cuda_kernelIN3c108BFloat16EfLi3ELi3ELi3ELi1ELi1ELi1EEEvN5torch10headeronly6detail27GenericPackedTensorAccessorINS7_14TensorAccessorINS3_8ArrayRefIlEEKT_Lm4ENS6_16DefaultPtrTraitsEiEENS_6detail16IndexBoundsCheckILm5EiEESD_Lm5ESE_iEENS8_INS9_ISB_SC_Lm4ESE_iEESI_SC_Lm5ESE_iEESJ_PSD_iiiiiiiii,comdat
	.globl	_ZN2at6native12_GLOBAL__N_128conv_depthwise3d_cuda_kernelIN3c108BFloat16EfLi3ELi3ELi3ELi1ELi1ELi1EEEvN5torch10headeronly6detail27GenericPackedTensorAccessorINS7_14TensorAccessorINS3_8ArrayRefIlEEKT_Lm4ENS6_16DefaultPtrTraitsEiEENS_6detail16IndexBoundsCheckILm5EiEESD_Lm5ESE_iEENS8_INS9_ISB_SC_Lm4ESE_iEESI_SC_Lm5ESE_iEESJ_PSD_iiiiiiiii ; -- Begin function _ZN2at6native12_GLOBAL__N_128conv_depthwise3d_cuda_kernelIN3c108BFloat16EfLi3ELi3ELi3ELi1ELi1ELi1EEEvN5torch10headeronly6detail27GenericPackedTensorAccessorINS7_14TensorAccessorINS3_8ArrayRefIlEEKT_Lm4ENS6_16DefaultPtrTraitsEiEENS_6detail16IndexBoundsCheckILm5EiEESD_Lm5ESE_iEENS8_INS9_ISB_SC_Lm4ESE_iEESI_SC_Lm5ESE_iEESJ_PSD_iiiiiiiii
	.p2align	8
	.type	_ZN2at6native12_GLOBAL__N_128conv_depthwise3d_cuda_kernelIN3c108BFloat16EfLi3ELi3ELi3ELi1ELi1ELi1EEEvN5torch10headeronly6detail27GenericPackedTensorAccessorINS7_14TensorAccessorINS3_8ArrayRefIlEEKT_Lm4ENS6_16DefaultPtrTraitsEiEENS_6detail16IndexBoundsCheckILm5EiEESD_Lm5ESE_iEENS8_INS9_ISB_SC_Lm4ESE_iEESI_SC_Lm5ESE_iEESJ_PSD_iiiiiiiii,@function
_ZN2at6native12_GLOBAL__N_128conv_depthwise3d_cuda_kernelIN3c108BFloat16EfLi3ELi3ELi3ELi1ELi1ELi1EEEvN5torch10headeronly6detail27GenericPackedTensorAccessorINS7_14TensorAccessorINS3_8ArrayRefIlEEKT_Lm4ENS6_16DefaultPtrTraitsEiEENS_6detail16IndexBoundsCheckILm5EiEESD_Lm5ESE_iEENS8_INS9_ISB_SC_Lm4ESE_iEESI_SC_Lm5ESE_iEESJ_PSD_iiiiiiiii: ; @_ZN2at6native12_GLOBAL__N_128conv_depthwise3d_cuda_kernelIN3c108BFloat16EfLi3ELi3ELi3ELi1ELi1ELi1EEEvN5torch10headeronly6detail27GenericPackedTensorAccessorINS7_14TensorAccessorINS3_8ArrayRefIlEEKT_Lm4ENS6_16DefaultPtrTraitsEiEENS_6detail16IndexBoundsCheckILm5EiEESD_Lm5ESE_iEENS8_INS9_ISB_SC_Lm4ESE_iEESI_SC_Lm5ESE_iEESJ_PSD_iiiiiiiii
; %bb.0:
	s_load_dwordx4 s[28:31], s[0:1], 0xc
	s_load_dwordx4 s[36:39], s[0:1], 0x38
	s_load_dwordx2 s[26:27], s[0:1], 0x48
	s_load_dword s3, s[0:1], 0xcc
	v_mov_b32_e32 v1, 0
	s_waitcnt lgkmcnt(0)
	s_abs_i32 s6, s28
	v_cvt_f32_u32_e32 v2, s6
	s_add_u32 s4, s0, 0xc0
	v_mov_b32_e32 v3, s2
	s_mul_i32 s34, s27, s36
	v_rcp_iflag_f32_e32 v2, v2
	s_addc_u32 s5, s1, 0
	s_and_b32 s3, s3, 0xffff
	s_ashr_i32 s35, s34, 31
	v_mul_f32_e32 v2, 0x4f7ffffe, v2
	v_cvt_u32_f32_e32 v4, v2
	v_mad_u64_u32 v[2:3], s[8:9], s3, v3, v[0:1]
	v_cmp_gt_i64_e32 vcc, s[34:35], v[2:3]
	v_readfirstlane_b32 s7, v4
	s_and_saveexec_b64 s[8:9], vcc
	s_cbranch_execz .LBB9_59
; %bb.1:
	s_sub_i32 s9, 0, s6
	s_mul_i32 s9, s9, s7
	s_mul_hi_u32 s9, s7, s9
	s_ashr_i32 s8, s28, 31
	s_abs_i32 s28, s37
	s_add_i32 s7, s7, s9
	s_ashr_i32 s33, s37, 31
	s_mul_hi_u32 s7, s28, s7
	s_mul_hi_u32 s55, s3, s2
	s_mul_i32 s54, s3, s2
	s_xor_b32 s2, s33, s8
	s_mul_i32 s8, s7, s6
	s_sub_i32 s8, s28, s8
	s_add_i32 s9, s7, 1
	s_sub_i32 s10, s8, s6
	s_cmp_ge_u32 s8, s6
	s_cselect_b32 s7, s9, s7
	s_cselect_b32 s8, s10, s8
	s_add_i32 s9, s7, 1
	s_cmp_ge_u32 s8, s6
	s_cselect_b32 s6, s9, s7
	s_xor_b32 s6, s6, s2
	s_load_dwordx4 s[40:43], s[0:1], 0x98
	s_load_dwordx2 s[56:57], s[0:1], 0xa8
	s_sub_i32 s2, s6, s2
	s_load_dword s6, s[4:5], 0x0
	s_load_dwordx2 s[58:59], s[0:1], 0x90
	s_load_dword s36, s[0:1], 0x7c
	s_load_dwordx2 s[60:61], s[0:1], 0x0
	s_load_dwordx4 s[44:47], s[0:1], 0x1c
	s_add_i32 s4, s30, -3
	s_mul_i32 s64, s31, s4
	s_ashr_i32 s63, s31, 31
	s_ashr_i32 s65, s64, 31
	s_waitcnt lgkmcnt(0)
	s_cmp_lg_u64 s[58:59], 0
	s_cselect_b64 s[66:67], -1, 0
	s_abs_i32 s78, s26
	v_cvt_f32_u32_e32 v2, s78
	s_abs_i32 s80, s39
	v_cvt_f32_u32_e32 v3, s80
	s_load_dword s79, s[0:1], 0x2c
	s_load_dwordx2 s[68:69], s[0:1], 0x30
	v_rcp_iflag_f32_e32 v2, v2
	s_load_dwordx2 s[72:73], s[0:1], 0x60
	s_load_dwordx4 s[48:51], s[0:1], 0x50
	v_rcp_iflag_f32_e32 v3, v3
	s_sub_i32 s0, 0, s78
	v_mul_f32_e32 v2, 0x4f7ffffe, v2
	v_cvt_u32_f32_e32 v2, v2
	s_abs_i32 s82, s38
	s_abs_i32 s85, s2
	v_cvt_f32_u32_e32 v5, s85
	v_mul_lo_u32 v4, s0, v2
	v_mul_hi_u32 v4, v2, v4
	v_add_u32_e32 v8, v2, v4
	v_mul_f32_e32 v2, 0x4f7ffffe, v3
	v_cvt_f32_u32_e32 v3, s82
	v_cvt_u32_f32_e32 v2, v2
	s_sub_i32 s0, 0, s80
	s_mov_b32 s53, 0
	v_rcp_iflag_f32_e32 v3, v3
	v_mul_lo_u32 v4, s0, v2
	v_mul_hi_u32 v4, v2, v4
	v_add_u32_e32 v9, v2, v4
	v_mul_f32_e32 v2, 0x4f7ffffe, v3
	v_cvt_u32_f32_e32 v2, v2
	v_cvt_f32_u32_e32 v3, s28
	s_sub_i32 s0, 0, s82
	s_mov_b32 s62, s31
	v_mul_lo_u32 v4, s0, v2
	v_rcp_iflag_f32_e32 v3, v3
	v_mul_hi_u32 v4, v2, v4
	v_add_u32_e32 v10, v2, v4
	v_rcp_iflag_f32_e32 v2, v5
	v_mul_f32_e32 v3, 0x4f7ffffe, v3
	v_cvt_u32_f32_e32 v3, v3
	s_sub_i32 s0, 0, s28
	v_mul_f32_e32 v2, 0x4f7ffffe, v2
	v_cvt_u32_f32_e32 v2, v2
	v_mul_lo_u32 v4, s0, v3
	v_mul_hi_u32 v4, v3, v4
	s_sub_i32 s0, 0, s85
	v_add_u32_e32 v11, v3, v4
	v_mul_lo_u32 v3, s0, v2
	v_mul_hi_u32 v3, v2, v3
	s_mov_b64 s[70:71], 0
	s_mul_i32 s52, s6, s3
	s_ashr_i32 s81, s26, 31
	s_ashr_i32 s83, s39, 31
	;; [unrolled: 1-line block ×4, first 2 shown]
	v_add_u32_e32 v12, v2, v3
	s_movk_i32 s87, 0x7fff
	v_mov_b32_e32 v13, 0x7fc0
	s_branch .LBB9_3
.LBB9_2:                                ;   in Loop: Header=BB9_3 Depth=1
	v_bfe_u32 v3, v18, 16, 1
	v_mul_lo_u32 v4, v17, s27
	v_add3_u32 v3, v18, v3, s87
	v_cmp_o_f32_e32 vcc, v18, v18
	v_ashrrev_i32_e32 v5, 31, v4
	v_mul_lo_u32 v2, s48, v2
	v_cndmask_b32_sdwa v6, v13, v3, vcc dst_sel:DWORD dst_unused:UNUSED_PAD src0_sel:DWORD src1_sel:WORD_1
	v_lshl_add_u64 v[4:5], v[4:5], 1, s[68:69]
	v_ashrrev_i32_e32 v3, 31, v2
	v_lshl_add_u64 v[2:3], v[2:3], 1, v[4:5]
	v_mul_lo_u32 v4, s49, v16
	v_ashrrev_i32_e32 v5, 31, v4
	v_lshl_add_u64 v[2:3], v[4:5], 1, v[2:3]
	v_mul_lo_u32 v4, s50, v15
	;; [unrolled: 3-line block ×3, first 2 shown]
	v_ashrrev_i32_e32 v5, 31, v4
	v_lshl_add_u64 v[0:1], v[0:1], 0, s[52:53]
	v_lshl_add_u64 v[2:3], v[4:5], 1, v[2:3]
	;; [unrolled: 1-line block ×3, first 2 shown]
	v_cmp_le_i64_e32 vcc, s[34:35], v[4:5]
	s_or_b64 s[70:71], vcc, s[70:71]
	global_store_short v[2:3], v6, off
	s_andn2_b64 exec, exec, s[70:71]
	s_cbranch_execz .LBB9_59
.LBB9_3:                                ; =>This Inner Loop Header: Depth=1
	v_add_u32_e32 v2, s54, v0
	v_sub_u32_e32 v4, 0, v2
	v_max_i32_e32 v4, v2, v4
	v_mul_hi_u32 v5, v4, v8
	v_mul_lo_u32 v6, v5, s78
	v_sub_u32_e32 v4, v4, v6
	v_add_u32_e32 v6, 1, v5
	v_cmp_le_u32_e32 vcc, s78, v4
	v_ashrrev_i32_e32 v3, 31, v2
	v_xor_b32_e32 v3, s81, v3
	v_cndmask_b32_e32 v5, v5, v6, vcc
	v_subrev_u32_e32 v6, s78, v4
	v_cndmask_b32_e32 v4, v4, v6, vcc
	v_add_u32_e32 v6, 1, v5
	v_cmp_le_u32_e32 vcc, s78, v4
	s_nop 1
	v_cndmask_b32_e32 v4, v5, v6, vcc
	v_xor_b32_e32 v4, v4, v3
	v_sub_u32_e32 v3, v4, v3
	v_mul_lo_u32 v4, v3, s26
	v_sub_u32_e32 v14, v2, v4
	v_sub_u32_e32 v4, 0, v3
	v_max_i32_e32 v4, v3, v4
	v_mul_hi_u32 v5, v4, v9
	v_mul_lo_u32 v6, v5, s80
	v_sub_u32_e32 v4, v4, v6
	v_add_u32_e32 v6, 1, v5
	v_cmp_le_u32_e32 vcc, s80, v4
	v_ashrrev_i32_e32 v2, 31, v3
	v_xor_b32_e32 v2, s83, v2
	v_cndmask_b32_e32 v5, v5, v6, vcc
	v_subrev_u32_e32 v6, s80, v4
	v_cndmask_b32_e32 v4, v4, v6, vcc
	v_add_u32_e32 v6, 1, v5
	v_cmp_le_u32_e32 vcc, s80, v4
	s_nop 1
	v_cndmask_b32_e32 v4, v5, v6, vcc
	v_xor_b32_e32 v4, v4, v2
	v_sub_u32_e32 v2, v4, v2
	v_mul_lo_u32 v4, v2, s39
	v_sub_u32_e32 v15, v3, v4
	;; [unrolled: 20-line block ×4, first 2 shown]
	v_sub_u32_e32 v5, 0, v2
	v_max_i32_e32 v5, v2, v5
	v_mul_hi_u32 v6, v5, v12
	v_mul_lo_u32 v7, v6, s85
	v_sub_u32_e32 v5, v5, v7
	v_add_u32_e32 v7, 1, v6
	v_cmp_le_u32_e32 vcc, s85, v5
	v_ashrrev_i32_e32 v3, 31, v2
	v_xor_b32_e32 v4, s86, v3
	v_cndmask_b32_e32 v6, v6, v7, vcc
	v_subrev_u32_e32 v7, s85, v5
	v_cndmask_b32_e32 v5, v5, v7, vcc
	v_add_u32_e32 v7, 1, v6
	v_cmp_le_u32_e32 vcc, s85, v5
	s_nop 1
	v_cndmask_b32_e32 v5, v6, v7, vcc
	v_xor_b32_e32 v5, v5, v4
	v_sub_u32_e32 v18, v5, v4
	v_mul_lo_u32 v4, v14, s42
	v_subrev_u32_e32 v21, s57, v4
	v_mul_lo_u32 v4, v15, s41
	v_mul_lo_u32 v6, s44, v17
	v_subrev_u32_e32 v20, s56, v4
	v_mul_lo_u32 v4, v16, s40
	v_ashrrev_i32_e32 v7, 31, v6
	v_mul_lo_u32 v22, s45, v18
	v_subrev_u32_e32 v19, s43, v4
	v_lshl_add_u64 v[6:7], v[6:7], 1, s[60:61]
	v_ashrrev_i32_e32 v23, 31, v22
	v_lshl_add_u64 v[6:7], v[22:23], 1, v[6:7]
	v_mul_lo_u32 v22, s46, v19
	v_ashrrev_i32_e32 v23, 31, v22
	v_or_b32_e32 v18, v19, v20
	v_lshl_add_u64 v[6:7], v[22:23], 1, v[6:7]
	v_mul_lo_u32 v22, s47, v20
	v_cmp_lt_i32_e64 s[8:9], -1, v18
	v_or_b32_e32 v18, v18, v21
	v_ashrrev_i32_e32 v23, 31, v22
	v_cmp_gt_i32_e64 s[22:23], s29, v19
	v_cmp_lt_i32_e64 s[0:1], -1, v18
	v_mul_lo_u32 v4, s36, v2
	v_lshl_add_u64 v[6:7], v[22:23], 1, v[6:7]
	s_waitcnt lgkmcnt(0)
	v_mul_lo_u32 v22, s79, v21
	v_cmp_gt_i32_e64 s[10:11], s30, v20
	s_and_b64 s[0:1], s[0:1], s[22:23]
	v_ashrrev_i32_e32 v5, 31, v4
	v_ashrrev_i32_e32 v23, 31, v22
	s_and_b64 s[2:3], s[0:1], s[10:11]
	v_cmp_gt_i32_e64 s[0:1], s31, v21
	v_lshl_add_u64 v[4:5], v[4:5], 1, s[72:73]
	v_lshl_add_u64 v[6:7], v[22:23], 1, v[6:7]
	v_cmp_lt_i32_e64 s[14:15], -1, v19
	v_cmp_lt_i32_e64 s[16:17], -1, v20
	v_cmp_lt_i32_e32 vcc, -1, v21
	s_and_b64 s[4:5], s[2:3], s[0:1]
	v_mov_b32_e32 v18, 0
	s_and_saveexec_b64 s[2:3], s[4:5]
	s_cbranch_execz .LBB9_5
; %bb.4:                                ;   in Loop: Header=BB9_3 Depth=1
	global_load_ushort v18, v[4:5], off
	global_load_ushort v22, v[6:7], off
	s_waitcnt vmcnt(1)
	v_lshlrev_b32_e32 v18, 16, v18
	s_waitcnt vmcnt(0)
	v_lshlrev_b32_e32 v22, 16, v22
	v_fma_f32 v18, v22, v18, 0
.LBB9_5:                                ;   in Loop: Header=BB9_3 Depth=1
	s_or_b64 exec, exec, s[2:3]
	v_cmp_lt_i32_e64 s[2:3], -2, v21
	s_and_b64 s[4:5], s[8:9], s[2:3]
	v_add_u32_e32 v22, 1, v21
	s_and_b64 s[4:5], s[4:5], s[22:23]
	s_and_b64 s[6:7], s[4:5], s[10:11]
	v_cmp_gt_i32_e64 s[4:5], s31, v22
	s_and_b64 s[12:13], s[6:7], s[4:5]
	s_and_saveexec_b64 s[6:7], s[12:13]
	s_cbranch_execz .LBB9_7
; %bb.6:                                ;   in Loop: Header=BB9_3 Depth=1
	global_load_ushort v22, v[4:5], off offset:2
	global_load_ushort v23, v[6:7], off offset:2
	s_waitcnt vmcnt(1)
	v_lshlrev_b32_e32 v22, 16, v22
	s_waitcnt vmcnt(0)
	v_lshlrev_b32_e32 v23, 16, v23
	v_fmac_f32_e32 v18, v23, v22
.LBB9_7:                                ;   in Loop: Header=BB9_3 Depth=1
	s_or_b64 exec, exec, s[6:7]
	v_cmp_lt_i32_e64 s[6:7], -3, v21
	s_and_b64 s[8:9], s[8:9], s[6:7]
	v_add_u32_e32 v22, 2, v21
	s_and_b64 s[8:9], s[8:9], s[22:23]
	s_and_b64 s[12:13], s[8:9], s[10:11]
	v_cmp_gt_i32_e64 s[8:9], s31, v22
	s_and_b64 s[18:19], s[12:13], s[8:9]
	s_and_saveexec_b64 s[12:13], s[18:19]
	s_cbranch_execz .LBB9_9
; %bb.8:                                ;   in Loop: Header=BB9_3 Depth=1
	global_load_ushort v21, v[4:5], off offset:4
	global_load_ushort v22, v[6:7], off offset:4
	s_waitcnt vmcnt(1)
	v_lshlrev_b32_e32 v21, 16, v21
	s_waitcnt vmcnt(0)
	v_lshlrev_b32_e32 v22, 16, v22
	v_fmac_f32_e32 v18, v22, v21
.LBB9_9:                                ;   in Loop: Header=BB9_3 Depth=1
	s_or_b64 exec, exec, s[12:13]
	v_cmp_lt_i32_e64 s[18:19], -2, v20
	s_and_b64 s[20:21], s[14:15], s[18:19]
	v_add_u32_e32 v21, 1, v20
	s_and_b64 s[24:25], s[20:21], vcc
	v_cmp_gt_i32_e64 s[12:13], s30, v21
	s_and_b64 s[24:25], s[24:25], s[22:23]
	s_and_b64 s[24:25], s[24:25], s[12:13]
	v_lshl_add_u64 v[6:7], s[62:63], 1, v[6:7]
	s_and_b64 s[74:75], s[24:25], s[0:1]
	s_and_saveexec_b64 s[24:25], s[74:75]
	s_cbranch_execz .LBB9_11
; %bb.10:                               ;   in Loop: Header=BB9_3 Depth=1
	global_load_ushort v21, v[4:5], off offset:6
	global_load_ushort v22, v[6:7], off
	s_waitcnt vmcnt(1)
	v_lshlrev_b32_e32 v21, 16, v21
	s_waitcnt vmcnt(0)
	v_lshlrev_b32_e32 v22, 16, v22
	v_fmac_f32_e32 v18, v22, v21
.LBB9_11:                               ;   in Loop: Header=BB9_3 Depth=1
	s_or_b64 exec, exec, s[24:25]
	s_and_b64 s[24:25], s[20:21], s[2:3]
	s_and_b64 s[24:25], s[24:25], s[22:23]
	;; [unrolled: 1-line block ×4, first 2 shown]
	s_and_saveexec_b64 s[24:25], s[74:75]
	s_cbranch_execz .LBB9_13
; %bb.12:                               ;   in Loop: Header=BB9_3 Depth=1
	global_load_ushort v21, v[4:5], off offset:8
	global_load_ushort v22, v[6:7], off offset:2
	s_waitcnt vmcnt(1)
	v_lshlrev_b32_e32 v21, 16, v21
	s_waitcnt vmcnt(0)
	v_lshlrev_b32_e32 v22, 16, v22
	v_fmac_f32_e32 v18, v22, v21
.LBB9_13:                               ;   in Loop: Header=BB9_3 Depth=1
	s_or_b64 exec, exec, s[24:25]
	s_and_b64 s[20:21], s[20:21], s[6:7]
	s_and_b64 s[20:21], s[20:21], s[22:23]
	;; [unrolled: 1-line block ×4, first 2 shown]
	s_and_saveexec_b64 s[20:21], s[24:25]
	s_cbranch_execz .LBB9_15
; %bb.14:                               ;   in Loop: Header=BB9_3 Depth=1
	global_load_ushort v21, v[4:5], off offset:10
	global_load_ushort v22, v[6:7], off offset:4
	s_waitcnt vmcnt(1)
	v_lshlrev_b32_e32 v21, 16, v21
	s_waitcnt vmcnt(0)
	v_lshlrev_b32_e32 v22, 16, v22
	v_fmac_f32_e32 v18, v22, v21
.LBB9_15:                               ;   in Loop: Header=BB9_3 Depth=1
	s_or_b64 exec, exec, s[20:21]
	v_cmp_lt_i32_e64 s[20:21], -3, v20
	s_and_b64 s[24:25], s[14:15], s[20:21]
	v_add_u32_e32 v21, 2, v20
	s_and_b64 s[74:75], s[24:25], vcc
	v_cmp_gt_i32_e64 s[14:15], s30, v21
	s_and_b64 s[74:75], s[74:75], s[22:23]
	s_and_b64 s[74:75], s[74:75], s[14:15]
	v_lshl_add_u64 v[6:7], s[62:63], 1, v[6:7]
	s_and_b64 s[76:77], s[74:75], s[0:1]
	s_and_saveexec_b64 s[74:75], s[76:77]
	s_cbranch_execz .LBB9_17
; %bb.16:                               ;   in Loop: Header=BB9_3 Depth=1
	global_load_ushort v20, v[4:5], off offset:12
	global_load_ushort v21, v[6:7], off
	s_waitcnt vmcnt(1)
	v_lshlrev_b32_e32 v20, 16, v20
	s_waitcnt vmcnt(0)
	v_lshlrev_b32_e32 v21, 16, v21
	v_fmac_f32_e32 v18, v21, v20
.LBB9_17:                               ;   in Loop: Header=BB9_3 Depth=1
	s_or_b64 exec, exec, s[74:75]
	s_and_b64 s[74:75], s[24:25], s[2:3]
	s_and_b64 s[74:75], s[74:75], s[22:23]
	;; [unrolled: 1-line block ×4, first 2 shown]
	s_and_saveexec_b64 s[74:75], s[76:77]
	s_cbranch_execz .LBB9_19
; %bb.18:                               ;   in Loop: Header=BB9_3 Depth=1
	global_load_ushort v20, v[4:5], off offset:14
	global_load_ushort v21, v[6:7], off offset:2
	s_waitcnt vmcnt(1)
	v_lshlrev_b32_e32 v20, 16, v20
	s_waitcnt vmcnt(0)
	v_lshlrev_b32_e32 v21, 16, v21
	v_fmac_f32_e32 v18, v21, v20
.LBB9_19:                               ;   in Loop: Header=BB9_3 Depth=1
	s_or_b64 exec, exec, s[74:75]
	s_and_b64 s[24:25], s[24:25], s[6:7]
	s_and_b64 s[22:23], s[24:25], s[22:23]
	;; [unrolled: 1-line block ×4, first 2 shown]
	s_and_saveexec_b64 s[22:23], s[24:25]
	s_cbranch_execz .LBB9_21
; %bb.20:                               ;   in Loop: Header=BB9_3 Depth=1
	global_load_ushort v20, v[4:5], off offset:16
	global_load_ushort v21, v[6:7], off offset:4
	s_waitcnt vmcnt(1)
	v_lshlrev_b32_e32 v20, 16, v20
	s_waitcnt vmcnt(0)
	v_lshlrev_b32_e32 v21, 16, v21
	v_fmac_f32_e32 v18, v21, v20
.LBB9_21:                               ;   in Loop: Header=BB9_3 Depth=1
	s_or_b64 exec, exec, s[22:23]
	v_cmp_lt_i32_e64 s[24:25], -2, v19
	v_add_u32_e32 v20, 1, v19
	s_and_b64 s[74:75], s[24:25], s[16:17]
	v_cmp_gt_i32_e64 s[22:23], s29, v20
	s_and_b64 s[76:77], s[74:75], vcc
	s_and_b64 s[76:77], s[76:77], s[22:23]
	v_lshl_add_u64 v[6:7], s[62:63], 1, v[6:7]
	s_and_b64 s[76:77], s[76:77], s[10:11]
	v_lshl_add_u64 v[6:7], s[64:65], 1, v[6:7]
	s_and_b64 s[88:89], s[76:77], s[0:1]
	s_and_saveexec_b64 s[76:77], s[88:89]
	s_cbranch_execz .LBB9_23
; %bb.22:                               ;   in Loop: Header=BB9_3 Depth=1
	global_load_ushort v20, v[4:5], off offset:18
	global_load_ushort v21, v[6:7], off
	s_waitcnt vmcnt(1)
	v_lshlrev_b32_e32 v20, 16, v20
	s_waitcnt vmcnt(0)
	v_lshlrev_b32_e32 v21, 16, v21
	v_fmac_f32_e32 v18, v21, v20
.LBB9_23:                               ;   in Loop: Header=BB9_3 Depth=1
	s_or_b64 exec, exec, s[76:77]
	s_and_b64 s[76:77], s[74:75], s[2:3]
	s_and_b64 s[76:77], s[76:77], s[22:23]
	;; [unrolled: 1-line block ×4, first 2 shown]
	s_and_saveexec_b64 s[76:77], s[88:89]
	s_cbranch_execz .LBB9_25
; %bb.24:                               ;   in Loop: Header=BB9_3 Depth=1
	global_load_ushort v20, v[4:5], off offset:20
	global_load_ushort v21, v[6:7], off offset:2
	s_waitcnt vmcnt(1)
	v_lshlrev_b32_e32 v20, 16, v20
	s_waitcnt vmcnt(0)
	v_lshlrev_b32_e32 v21, 16, v21
	v_fmac_f32_e32 v18, v21, v20
.LBB9_25:                               ;   in Loop: Header=BB9_3 Depth=1
	s_or_b64 exec, exec, s[76:77]
	s_and_b64 s[74:75], s[74:75], s[6:7]
	s_and_b64 s[74:75], s[74:75], s[22:23]
	;; [unrolled: 1-line block ×4, first 2 shown]
	s_and_saveexec_b64 s[74:75], s[76:77]
	s_cbranch_execz .LBB9_27
; %bb.26:                               ;   in Loop: Header=BB9_3 Depth=1
	global_load_ushort v20, v[4:5], off offset:22
	global_load_ushort v21, v[6:7], off offset:4
	s_waitcnt vmcnt(1)
	v_lshlrev_b32_e32 v20, 16, v20
	s_waitcnt vmcnt(0)
	v_lshlrev_b32_e32 v21, 16, v21
	v_fmac_f32_e32 v18, v21, v20
.LBB9_27:                               ;   in Loop: Header=BB9_3 Depth=1
	s_or_b64 exec, exec, s[74:75]
	s_and_b64 s[74:75], s[24:25], s[18:19]
	s_and_b64 s[76:77], s[74:75], vcc
	s_and_b64 s[76:77], s[76:77], s[22:23]
	s_and_b64 s[76:77], s[76:77], s[12:13]
	v_lshl_add_u64 v[6:7], s[62:63], 1, v[6:7]
	s_and_b64 s[88:89], s[76:77], s[0:1]
	s_and_saveexec_b64 s[76:77], s[88:89]
	s_cbranch_execz .LBB9_29
; %bb.28:                               ;   in Loop: Header=BB9_3 Depth=1
	global_load_ushort v20, v[4:5], off offset:24
	global_load_ushort v21, v[6:7], off
	s_waitcnt vmcnt(1)
	v_lshlrev_b32_e32 v20, 16, v20
	s_waitcnt vmcnt(0)
	v_lshlrev_b32_e32 v21, 16, v21
	v_fmac_f32_e32 v18, v21, v20
.LBB9_29:                               ;   in Loop: Header=BB9_3 Depth=1
	s_or_b64 exec, exec, s[76:77]
	s_and_b64 s[76:77], s[74:75], s[2:3]
	s_and_b64 s[76:77], s[76:77], s[22:23]
	;; [unrolled: 1-line block ×4, first 2 shown]
	s_and_saveexec_b64 s[76:77], s[88:89]
	s_cbranch_execz .LBB9_31
; %bb.30:                               ;   in Loop: Header=BB9_3 Depth=1
	global_load_ushort v20, v[4:5], off offset:26
	global_load_ushort v21, v[6:7], off offset:2
	s_waitcnt vmcnt(1)
	v_lshlrev_b32_e32 v20, 16, v20
	s_waitcnt vmcnt(0)
	v_lshlrev_b32_e32 v21, 16, v21
	v_fmac_f32_e32 v18, v21, v20
.LBB9_31:                               ;   in Loop: Header=BB9_3 Depth=1
	s_or_b64 exec, exec, s[76:77]
	s_and_b64 s[74:75], s[74:75], s[6:7]
	s_and_b64 s[74:75], s[74:75], s[22:23]
	;; [unrolled: 1-line block ×4, first 2 shown]
	s_and_saveexec_b64 s[74:75], s[76:77]
	s_cbranch_execz .LBB9_33
; %bb.32:                               ;   in Loop: Header=BB9_3 Depth=1
	global_load_ushort v20, v[4:5], off offset:28
	global_load_ushort v21, v[6:7], off offset:4
	s_waitcnt vmcnt(1)
	v_lshlrev_b32_e32 v20, 16, v20
	s_waitcnt vmcnt(0)
	v_lshlrev_b32_e32 v21, 16, v21
	v_fmac_f32_e32 v18, v21, v20
.LBB9_33:                               ;   in Loop: Header=BB9_3 Depth=1
	s_or_b64 exec, exec, s[74:75]
	s_and_b64 s[24:25], s[24:25], s[20:21]
	s_and_b64 s[74:75], s[24:25], vcc
	s_and_b64 s[74:75], s[74:75], s[22:23]
	s_and_b64 s[74:75], s[74:75], s[14:15]
	v_lshl_add_u64 v[6:7], s[62:63], 1, v[6:7]
	s_and_b64 s[76:77], s[74:75], s[0:1]
	s_and_saveexec_b64 s[74:75], s[76:77]
	s_cbranch_execz .LBB9_35
; %bb.34:                               ;   in Loop: Header=BB9_3 Depth=1
	global_load_ushort v20, v[4:5], off offset:30
	global_load_ushort v21, v[6:7], off
	s_waitcnt vmcnt(1)
	v_lshlrev_b32_e32 v20, 16, v20
	s_waitcnt vmcnt(0)
	v_lshlrev_b32_e32 v21, 16, v21
	v_fmac_f32_e32 v18, v21, v20
.LBB9_35:                               ;   in Loop: Header=BB9_3 Depth=1
	s_or_b64 exec, exec, s[74:75]
	s_and_b64 s[74:75], s[24:25], s[2:3]
	s_and_b64 s[74:75], s[74:75], s[22:23]
	;; [unrolled: 1-line block ×4, first 2 shown]
	s_and_saveexec_b64 s[74:75], s[76:77]
	s_cbranch_execz .LBB9_37
; %bb.36:                               ;   in Loop: Header=BB9_3 Depth=1
	global_load_ushort v20, v[4:5], off offset:32
	global_load_ushort v21, v[6:7], off offset:2
	s_waitcnt vmcnt(1)
	v_lshlrev_b32_e32 v20, 16, v20
	s_waitcnt vmcnt(0)
	v_lshlrev_b32_e32 v21, 16, v21
	v_fmac_f32_e32 v18, v21, v20
.LBB9_37:                               ;   in Loop: Header=BB9_3 Depth=1
	s_or_b64 exec, exec, s[74:75]
	s_and_b64 s[24:25], s[24:25], s[6:7]
	s_and_b64 s[22:23], s[24:25], s[22:23]
	s_and_b64 s[22:23], s[22:23], s[14:15]
	s_and_b64 s[24:25], s[22:23], s[8:9]
	s_and_saveexec_b64 s[22:23], s[24:25]
	s_cbranch_execz .LBB9_39
; %bb.38:                               ;   in Loop: Header=BB9_3 Depth=1
	global_load_ushort v20, v[4:5], off offset:34
	global_load_ushort v21, v[6:7], off offset:4
	s_waitcnt vmcnt(1)
	v_lshlrev_b32_e32 v20, 16, v20
	s_waitcnt vmcnt(0)
	v_lshlrev_b32_e32 v21, 16, v21
	v_fmac_f32_e32 v18, v21, v20
.LBB9_39:                               ;   in Loop: Header=BB9_3 Depth=1
	s_or_b64 exec, exec, s[22:23]
	v_cmp_lt_i32_e64 s[24:25], -3, v19
	v_add_u32_e32 v20, 2, v19
	s_and_b64 s[16:17], s[24:25], s[16:17]
	v_cmp_gt_i32_e64 s[22:23], s29, v20
	s_and_b64 s[74:75], s[16:17], vcc
	s_and_b64 s[74:75], s[74:75], s[22:23]
	v_lshl_add_u64 v[6:7], s[62:63], 1, v[6:7]
	s_and_b64 s[74:75], s[74:75], s[10:11]
	v_lshl_add_u64 v[6:7], s[64:65], 1, v[6:7]
	s_and_b64 s[76:77], s[74:75], s[0:1]
	s_and_saveexec_b64 s[74:75], s[76:77]
	s_cbranch_execz .LBB9_41
; %bb.40:                               ;   in Loop: Header=BB9_3 Depth=1
	global_load_ushort v19, v[4:5], off offset:36
	global_load_ushort v20, v[6:7], off
	s_waitcnt vmcnt(1)
	v_lshlrev_b32_e32 v19, 16, v19
	s_waitcnt vmcnt(0)
	v_lshlrev_b32_e32 v20, 16, v20
	v_fmac_f32_e32 v18, v20, v19
.LBB9_41:                               ;   in Loop: Header=BB9_3 Depth=1
	s_or_b64 exec, exec, s[74:75]
	s_and_b64 s[74:75], s[16:17], s[2:3]
	s_and_b64 s[74:75], s[74:75], s[22:23]
	;; [unrolled: 1-line block ×4, first 2 shown]
	s_and_saveexec_b64 s[74:75], s[76:77]
	s_cbranch_execz .LBB9_43
; %bb.42:                               ;   in Loop: Header=BB9_3 Depth=1
	global_load_ushort v19, v[4:5], off offset:38
	global_load_ushort v20, v[6:7], off offset:2
	s_waitcnt vmcnt(1)
	v_lshlrev_b32_e32 v19, 16, v19
	s_waitcnt vmcnt(0)
	v_lshlrev_b32_e32 v20, 16, v20
	v_fmac_f32_e32 v18, v20, v19
.LBB9_43:                               ;   in Loop: Header=BB9_3 Depth=1
	s_or_b64 exec, exec, s[74:75]
	s_and_b64 s[16:17], s[16:17], s[6:7]
	s_and_b64 s[16:17], s[16:17], s[22:23]
	;; [unrolled: 1-line block ×4, first 2 shown]
	s_and_saveexec_b64 s[10:11], s[16:17]
	s_cbranch_execz .LBB9_45
; %bb.44:                               ;   in Loop: Header=BB9_3 Depth=1
	global_load_ushort v19, v[4:5], off offset:40
	global_load_ushort v20, v[6:7], off offset:4
	s_waitcnt vmcnt(1)
	v_lshlrev_b32_e32 v19, 16, v19
	s_waitcnt vmcnt(0)
	v_lshlrev_b32_e32 v20, 16, v20
	v_fmac_f32_e32 v18, v20, v19
.LBB9_45:                               ;   in Loop: Header=BB9_3 Depth=1
	s_or_b64 exec, exec, s[10:11]
	s_and_b64 s[10:11], s[24:25], s[18:19]
	s_and_b64 s[16:17], s[10:11], vcc
	s_and_b64 s[16:17], s[16:17], s[22:23]
	s_and_b64 s[16:17], s[16:17], s[12:13]
	v_lshl_add_u64 v[6:7], s[62:63], 1, v[6:7]
	s_and_b64 s[18:19], s[16:17], s[0:1]
	s_and_saveexec_b64 s[16:17], s[18:19]
	s_cbranch_execz .LBB9_47
; %bb.46:                               ;   in Loop: Header=BB9_3 Depth=1
	global_load_ushort v19, v[4:5], off offset:42
	global_load_ushort v20, v[6:7], off
	s_waitcnt vmcnt(1)
	v_lshlrev_b32_e32 v19, 16, v19
	s_waitcnt vmcnt(0)
	v_lshlrev_b32_e32 v20, 16, v20
	v_fmac_f32_e32 v18, v20, v19
.LBB9_47:                               ;   in Loop: Header=BB9_3 Depth=1
	s_or_b64 exec, exec, s[16:17]
	s_and_b64 s[16:17], s[10:11], s[2:3]
	s_and_b64 s[16:17], s[16:17], s[22:23]
	;; [unrolled: 1-line block ×4, first 2 shown]
	s_and_saveexec_b64 s[16:17], s[18:19]
	s_cbranch_execz .LBB9_49
; %bb.48:                               ;   in Loop: Header=BB9_3 Depth=1
	global_load_ushort v19, v[4:5], off offset:44
	global_load_ushort v20, v[6:7], off offset:2
	s_waitcnt vmcnt(1)
	v_lshlrev_b32_e32 v19, 16, v19
	s_waitcnt vmcnt(0)
	v_lshlrev_b32_e32 v20, 16, v20
	v_fmac_f32_e32 v18, v20, v19
.LBB9_49:                               ;   in Loop: Header=BB9_3 Depth=1
	s_or_b64 exec, exec, s[16:17]
	s_and_b64 s[10:11], s[10:11], s[6:7]
	s_and_b64 s[10:11], s[10:11], s[22:23]
	;; [unrolled: 1-line block ×4, first 2 shown]
	s_and_saveexec_b64 s[10:11], s[12:13]
	s_cbranch_execz .LBB9_51
; %bb.50:                               ;   in Loop: Header=BB9_3 Depth=1
	global_load_ushort v19, v[4:5], off offset:46
	global_load_ushort v20, v[6:7], off offset:4
	s_waitcnt vmcnt(1)
	v_lshlrev_b32_e32 v19, 16, v19
	s_waitcnt vmcnt(0)
	v_lshlrev_b32_e32 v20, 16, v20
	v_fmac_f32_e32 v18, v20, v19
.LBB9_51:                               ;   in Loop: Header=BB9_3 Depth=1
	s_or_b64 exec, exec, s[10:11]
	s_and_b64 s[10:11], s[24:25], s[20:21]
	s_and_b64 s[12:13], s[10:11], vcc
	s_and_b64 s[12:13], s[12:13], s[22:23]
	s_and_b64 s[12:13], s[12:13], s[14:15]
	v_lshl_add_u64 v[6:7], s[62:63], 1, v[6:7]
	s_and_b64 s[12:13], s[12:13], s[0:1]
	s_and_saveexec_b64 s[0:1], s[12:13]
	s_cbranch_execz .LBB9_53
; %bb.52:                               ;   in Loop: Header=BB9_3 Depth=1
	global_load_ushort v19, v[4:5], off offset:48
	global_load_ushort v20, v[6:7], off
	s_waitcnt vmcnt(1)
	v_lshlrev_b32_e32 v19, 16, v19
	s_waitcnt vmcnt(0)
	v_lshlrev_b32_e32 v20, 16, v20
	v_fmac_f32_e32 v18, v20, v19
.LBB9_53:                               ;   in Loop: Header=BB9_3 Depth=1
	s_or_b64 exec, exec, s[0:1]
	s_and_b64 s[0:1], s[10:11], s[2:3]
	s_and_b64 s[0:1], s[0:1], s[22:23]
	;; [unrolled: 1-line block ×4, first 2 shown]
	s_and_saveexec_b64 s[0:1], s[2:3]
	s_cbranch_execz .LBB9_55
; %bb.54:                               ;   in Loop: Header=BB9_3 Depth=1
	global_load_ushort v19, v[4:5], off offset:50
	global_load_ushort v20, v[6:7], off offset:2
	s_waitcnt vmcnt(1)
	v_lshlrev_b32_e32 v19, 16, v19
	s_waitcnt vmcnt(0)
	v_lshlrev_b32_e32 v20, 16, v20
	v_fmac_f32_e32 v18, v20, v19
.LBB9_55:                               ;   in Loop: Header=BB9_3 Depth=1
	s_or_b64 exec, exec, s[0:1]
	s_and_b64 s[0:1], s[10:11], s[6:7]
	s_and_b64 s[0:1], s[0:1], s[22:23]
	;; [unrolled: 1-line block ×4, first 2 shown]
	s_and_saveexec_b64 s[0:1], s[2:3]
	s_cbranch_execz .LBB9_57
; %bb.56:                               ;   in Loop: Header=BB9_3 Depth=1
	global_load_ushort v4, v[4:5], off offset:52
	s_nop 0
	global_load_ushort v5, v[6:7], off offset:4
	s_waitcnt vmcnt(1)
	v_lshlrev_b32_e32 v4, 16, v4
	s_waitcnt vmcnt(0)
	v_lshlrev_b32_e32 v5, 16, v5
	v_fmac_f32_e32 v18, v5, v4
.LBB9_57:                               ;   in Loop: Header=BB9_3 Depth=1
	s_or_b64 exec, exec, s[0:1]
	s_andn2_b64 vcc, exec, s[66:67]
	s_cbranch_vccnz .LBB9_2
; %bb.58:                               ;   in Loop: Header=BB9_3 Depth=1
	v_lshl_add_u64 v[4:5], v[2:3], 1, s[58:59]
	global_load_ushort v3, v[4:5], off
	s_waitcnt vmcnt(0)
	v_lshlrev_b32_e32 v3, 16, v3
	v_add_f32_e32 v18, v18, v3
	s_branch .LBB9_2
.LBB9_59:
	s_endpgm
	.section	.rodata,"a",@progbits
	.p2align	6, 0x0
	.amdhsa_kernel _ZN2at6native12_GLOBAL__N_128conv_depthwise3d_cuda_kernelIN3c108BFloat16EfLi3ELi3ELi3ELi1ELi1ELi1EEEvN5torch10headeronly6detail27GenericPackedTensorAccessorINS7_14TensorAccessorINS3_8ArrayRefIlEEKT_Lm4ENS6_16DefaultPtrTraitsEiEENS_6detail16IndexBoundsCheckILm5EiEESD_Lm5ESE_iEENS8_INS9_ISB_SC_Lm4ESE_iEESI_SC_Lm5ESE_iEESJ_PSD_iiiiiiiii
		.amdhsa_group_segment_fixed_size 0
		.amdhsa_private_segment_fixed_size 0
		.amdhsa_kernarg_size 448
		.amdhsa_user_sgpr_count 2
		.amdhsa_user_sgpr_dispatch_ptr 0
		.amdhsa_user_sgpr_queue_ptr 0
		.amdhsa_user_sgpr_kernarg_segment_ptr 1
		.amdhsa_user_sgpr_dispatch_id 0
		.amdhsa_user_sgpr_kernarg_preload_length 0
		.amdhsa_user_sgpr_kernarg_preload_offset 0
		.amdhsa_user_sgpr_private_segment_size 0
		.amdhsa_uses_dynamic_stack 0
		.amdhsa_enable_private_segment 0
		.amdhsa_system_sgpr_workgroup_id_x 1
		.amdhsa_system_sgpr_workgroup_id_y 0
		.amdhsa_system_sgpr_workgroup_id_z 0
		.amdhsa_system_sgpr_workgroup_info 0
		.amdhsa_system_vgpr_workitem_id 0
		.amdhsa_next_free_vgpr 24
		.amdhsa_next_free_sgpr 90
		.amdhsa_accum_offset 24
		.amdhsa_reserve_vcc 1
		.amdhsa_float_round_mode_32 0
		.amdhsa_float_round_mode_16_64 0
		.amdhsa_float_denorm_mode_32 3
		.amdhsa_float_denorm_mode_16_64 3
		.amdhsa_dx10_clamp 1
		.amdhsa_ieee_mode 1
		.amdhsa_fp16_overflow 0
		.amdhsa_tg_split 0
		.amdhsa_exception_fp_ieee_invalid_op 0
		.amdhsa_exception_fp_denorm_src 0
		.amdhsa_exception_fp_ieee_div_zero 0
		.amdhsa_exception_fp_ieee_overflow 0
		.amdhsa_exception_fp_ieee_underflow 0
		.amdhsa_exception_fp_ieee_inexact 0
		.amdhsa_exception_int_div_zero 0
	.end_amdhsa_kernel
	.section	.text._ZN2at6native12_GLOBAL__N_128conv_depthwise3d_cuda_kernelIN3c108BFloat16EfLi3ELi3ELi3ELi1ELi1ELi1EEEvN5torch10headeronly6detail27GenericPackedTensorAccessorINS7_14TensorAccessorINS3_8ArrayRefIlEEKT_Lm4ENS6_16DefaultPtrTraitsEiEENS_6detail16IndexBoundsCheckILm5EiEESD_Lm5ESE_iEENS8_INS9_ISB_SC_Lm4ESE_iEESI_SC_Lm5ESE_iEESJ_PSD_iiiiiiiii,"axG",@progbits,_ZN2at6native12_GLOBAL__N_128conv_depthwise3d_cuda_kernelIN3c108BFloat16EfLi3ELi3ELi3ELi1ELi1ELi1EEEvN5torch10headeronly6detail27GenericPackedTensorAccessorINS7_14TensorAccessorINS3_8ArrayRefIlEEKT_Lm4ENS6_16DefaultPtrTraitsEiEENS_6detail16IndexBoundsCheckILm5EiEESD_Lm5ESE_iEENS8_INS9_ISB_SC_Lm4ESE_iEESI_SC_Lm5ESE_iEESJ_PSD_iiiiiiiii,comdat
.Lfunc_end9:
	.size	_ZN2at6native12_GLOBAL__N_128conv_depthwise3d_cuda_kernelIN3c108BFloat16EfLi3ELi3ELi3ELi1ELi1ELi1EEEvN5torch10headeronly6detail27GenericPackedTensorAccessorINS7_14TensorAccessorINS3_8ArrayRefIlEEKT_Lm4ENS6_16DefaultPtrTraitsEiEENS_6detail16IndexBoundsCheckILm5EiEESD_Lm5ESE_iEENS8_INS9_ISB_SC_Lm4ESE_iEESI_SC_Lm5ESE_iEESJ_PSD_iiiiiiiii, .Lfunc_end9-_ZN2at6native12_GLOBAL__N_128conv_depthwise3d_cuda_kernelIN3c108BFloat16EfLi3ELi3ELi3ELi1ELi1ELi1EEEvN5torch10headeronly6detail27GenericPackedTensorAccessorINS7_14TensorAccessorINS3_8ArrayRefIlEEKT_Lm4ENS6_16DefaultPtrTraitsEiEENS_6detail16IndexBoundsCheckILm5EiEESD_Lm5ESE_iEENS8_INS9_ISB_SC_Lm4ESE_iEESI_SC_Lm5ESE_iEESJ_PSD_iiiiiiiii
                                        ; -- End function
	.set _ZN2at6native12_GLOBAL__N_128conv_depthwise3d_cuda_kernelIN3c108BFloat16EfLi3ELi3ELi3ELi1ELi1ELi1EEEvN5torch10headeronly6detail27GenericPackedTensorAccessorINS7_14TensorAccessorINS3_8ArrayRefIlEEKT_Lm4ENS6_16DefaultPtrTraitsEiEENS_6detail16IndexBoundsCheckILm5EiEESD_Lm5ESE_iEENS8_INS9_ISB_SC_Lm4ESE_iEESI_SC_Lm5ESE_iEESJ_PSD_iiiiiiiii.num_vgpr, 24
	.set _ZN2at6native12_GLOBAL__N_128conv_depthwise3d_cuda_kernelIN3c108BFloat16EfLi3ELi3ELi3ELi1ELi1ELi1EEEvN5torch10headeronly6detail27GenericPackedTensorAccessorINS7_14TensorAccessorINS3_8ArrayRefIlEEKT_Lm4ENS6_16DefaultPtrTraitsEiEENS_6detail16IndexBoundsCheckILm5EiEESD_Lm5ESE_iEENS8_INS9_ISB_SC_Lm4ESE_iEESI_SC_Lm5ESE_iEESJ_PSD_iiiiiiiii.num_agpr, 0
	.set _ZN2at6native12_GLOBAL__N_128conv_depthwise3d_cuda_kernelIN3c108BFloat16EfLi3ELi3ELi3ELi1ELi1ELi1EEEvN5torch10headeronly6detail27GenericPackedTensorAccessorINS7_14TensorAccessorINS3_8ArrayRefIlEEKT_Lm4ENS6_16DefaultPtrTraitsEiEENS_6detail16IndexBoundsCheckILm5EiEESD_Lm5ESE_iEENS8_INS9_ISB_SC_Lm4ESE_iEESI_SC_Lm5ESE_iEESJ_PSD_iiiiiiiii.numbered_sgpr, 90
	.set _ZN2at6native12_GLOBAL__N_128conv_depthwise3d_cuda_kernelIN3c108BFloat16EfLi3ELi3ELi3ELi1ELi1ELi1EEEvN5torch10headeronly6detail27GenericPackedTensorAccessorINS7_14TensorAccessorINS3_8ArrayRefIlEEKT_Lm4ENS6_16DefaultPtrTraitsEiEENS_6detail16IndexBoundsCheckILm5EiEESD_Lm5ESE_iEENS8_INS9_ISB_SC_Lm4ESE_iEESI_SC_Lm5ESE_iEESJ_PSD_iiiiiiiii.num_named_barrier, 0
	.set _ZN2at6native12_GLOBAL__N_128conv_depthwise3d_cuda_kernelIN3c108BFloat16EfLi3ELi3ELi3ELi1ELi1ELi1EEEvN5torch10headeronly6detail27GenericPackedTensorAccessorINS7_14TensorAccessorINS3_8ArrayRefIlEEKT_Lm4ENS6_16DefaultPtrTraitsEiEENS_6detail16IndexBoundsCheckILm5EiEESD_Lm5ESE_iEENS8_INS9_ISB_SC_Lm4ESE_iEESI_SC_Lm5ESE_iEESJ_PSD_iiiiiiiii.private_seg_size, 0
	.set _ZN2at6native12_GLOBAL__N_128conv_depthwise3d_cuda_kernelIN3c108BFloat16EfLi3ELi3ELi3ELi1ELi1ELi1EEEvN5torch10headeronly6detail27GenericPackedTensorAccessorINS7_14TensorAccessorINS3_8ArrayRefIlEEKT_Lm4ENS6_16DefaultPtrTraitsEiEENS_6detail16IndexBoundsCheckILm5EiEESD_Lm5ESE_iEENS8_INS9_ISB_SC_Lm4ESE_iEESI_SC_Lm5ESE_iEESJ_PSD_iiiiiiiii.uses_vcc, 1
	.set _ZN2at6native12_GLOBAL__N_128conv_depthwise3d_cuda_kernelIN3c108BFloat16EfLi3ELi3ELi3ELi1ELi1ELi1EEEvN5torch10headeronly6detail27GenericPackedTensorAccessorINS7_14TensorAccessorINS3_8ArrayRefIlEEKT_Lm4ENS6_16DefaultPtrTraitsEiEENS_6detail16IndexBoundsCheckILm5EiEESD_Lm5ESE_iEENS8_INS9_ISB_SC_Lm4ESE_iEESI_SC_Lm5ESE_iEESJ_PSD_iiiiiiiii.uses_flat_scratch, 0
	.set _ZN2at6native12_GLOBAL__N_128conv_depthwise3d_cuda_kernelIN3c108BFloat16EfLi3ELi3ELi3ELi1ELi1ELi1EEEvN5torch10headeronly6detail27GenericPackedTensorAccessorINS7_14TensorAccessorINS3_8ArrayRefIlEEKT_Lm4ENS6_16DefaultPtrTraitsEiEENS_6detail16IndexBoundsCheckILm5EiEESD_Lm5ESE_iEENS8_INS9_ISB_SC_Lm4ESE_iEESI_SC_Lm5ESE_iEESJ_PSD_iiiiiiiii.has_dyn_sized_stack, 0
	.set _ZN2at6native12_GLOBAL__N_128conv_depthwise3d_cuda_kernelIN3c108BFloat16EfLi3ELi3ELi3ELi1ELi1ELi1EEEvN5torch10headeronly6detail27GenericPackedTensorAccessorINS7_14TensorAccessorINS3_8ArrayRefIlEEKT_Lm4ENS6_16DefaultPtrTraitsEiEENS_6detail16IndexBoundsCheckILm5EiEESD_Lm5ESE_iEENS8_INS9_ISB_SC_Lm4ESE_iEESI_SC_Lm5ESE_iEESJ_PSD_iiiiiiiii.has_recursion, 0
	.set _ZN2at6native12_GLOBAL__N_128conv_depthwise3d_cuda_kernelIN3c108BFloat16EfLi3ELi3ELi3ELi1ELi1ELi1EEEvN5torch10headeronly6detail27GenericPackedTensorAccessorINS7_14TensorAccessorINS3_8ArrayRefIlEEKT_Lm4ENS6_16DefaultPtrTraitsEiEENS_6detail16IndexBoundsCheckILm5EiEESD_Lm5ESE_iEENS8_INS9_ISB_SC_Lm4ESE_iEESI_SC_Lm5ESE_iEESJ_PSD_iiiiiiiii.has_indirect_call, 0
	.section	.AMDGPU.csdata,"",@progbits
; Kernel info:
; codeLenInByte = 3472
; TotalNumSgprs: 96
; NumVgprs: 24
; NumAgprs: 0
; TotalNumVgprs: 24
; ScratchSize: 0
; MemoryBound: 0
; FloatMode: 240
; IeeeMode: 1
; LDSByteSize: 0 bytes/workgroup (compile time only)
; SGPRBlocks: 11
; VGPRBlocks: 2
; NumSGPRsForWavesPerEU: 96
; NumVGPRsForWavesPerEU: 24
; AccumOffset: 24
; Occupancy: 8
; WaveLimiterHint : 0
; COMPUTE_PGM_RSRC2:SCRATCH_EN: 0
; COMPUTE_PGM_RSRC2:USER_SGPR: 2
; COMPUTE_PGM_RSRC2:TRAP_HANDLER: 0
; COMPUTE_PGM_RSRC2:TGID_X_EN: 1
; COMPUTE_PGM_RSRC2:TGID_Y_EN: 0
; COMPUTE_PGM_RSRC2:TGID_Z_EN: 0
; COMPUTE_PGM_RSRC2:TIDIG_COMP_CNT: 0
; COMPUTE_PGM_RSRC3_GFX90A:ACCUM_OFFSET: 5
; COMPUTE_PGM_RSRC3_GFX90A:TG_SPLIT: 0
	.section	.text._ZN2at6native12_GLOBAL__N_128conv_depthwise3d_cuda_kernelIN3c108BFloat16EfLin1ELin1ELin1ELi1ELi1ELi1EEEvN5torch10headeronly6detail27GenericPackedTensorAccessorINS7_14TensorAccessorINS3_8ArrayRefIlEEKT_Lm4ENS6_16DefaultPtrTraitsEiEENS_6detail16IndexBoundsCheckILm5EiEESD_Lm5ESE_iEENS8_INS9_ISB_SC_Lm4ESE_iEESI_SC_Lm5ESE_iEESJ_PSD_iiiiiiiii,"axG",@progbits,_ZN2at6native12_GLOBAL__N_128conv_depthwise3d_cuda_kernelIN3c108BFloat16EfLin1ELin1ELin1ELi1ELi1ELi1EEEvN5torch10headeronly6detail27GenericPackedTensorAccessorINS7_14TensorAccessorINS3_8ArrayRefIlEEKT_Lm4ENS6_16DefaultPtrTraitsEiEENS_6detail16IndexBoundsCheckILm5EiEESD_Lm5ESE_iEENS8_INS9_ISB_SC_Lm4ESE_iEESI_SC_Lm5ESE_iEESJ_PSD_iiiiiiiii,comdat
	.globl	_ZN2at6native12_GLOBAL__N_128conv_depthwise3d_cuda_kernelIN3c108BFloat16EfLin1ELin1ELin1ELi1ELi1ELi1EEEvN5torch10headeronly6detail27GenericPackedTensorAccessorINS7_14TensorAccessorINS3_8ArrayRefIlEEKT_Lm4ENS6_16DefaultPtrTraitsEiEENS_6detail16IndexBoundsCheckILm5EiEESD_Lm5ESE_iEENS8_INS9_ISB_SC_Lm4ESE_iEESI_SC_Lm5ESE_iEESJ_PSD_iiiiiiiii ; -- Begin function _ZN2at6native12_GLOBAL__N_128conv_depthwise3d_cuda_kernelIN3c108BFloat16EfLin1ELin1ELin1ELi1ELi1ELi1EEEvN5torch10headeronly6detail27GenericPackedTensorAccessorINS7_14TensorAccessorINS3_8ArrayRefIlEEKT_Lm4ENS6_16DefaultPtrTraitsEiEENS_6detail16IndexBoundsCheckILm5EiEESD_Lm5ESE_iEENS8_INS9_ISB_SC_Lm4ESE_iEESI_SC_Lm5ESE_iEESJ_PSD_iiiiiiiii
	.p2align	8
	.type	_ZN2at6native12_GLOBAL__N_128conv_depthwise3d_cuda_kernelIN3c108BFloat16EfLin1ELin1ELin1ELi1ELi1ELi1EEEvN5torch10headeronly6detail27GenericPackedTensorAccessorINS7_14TensorAccessorINS3_8ArrayRefIlEEKT_Lm4ENS6_16DefaultPtrTraitsEiEENS_6detail16IndexBoundsCheckILm5EiEESD_Lm5ESE_iEENS8_INS9_ISB_SC_Lm4ESE_iEESI_SC_Lm5ESE_iEESJ_PSD_iiiiiiiii,@function
_ZN2at6native12_GLOBAL__N_128conv_depthwise3d_cuda_kernelIN3c108BFloat16EfLin1ELin1ELin1ELi1ELi1ELi1EEEvN5torch10headeronly6detail27GenericPackedTensorAccessorINS7_14TensorAccessorINS3_8ArrayRefIlEEKT_Lm4ENS6_16DefaultPtrTraitsEiEENS_6detail16IndexBoundsCheckILm5EiEESD_Lm5ESE_iEENS8_INS9_ISB_SC_Lm4ESE_iEESI_SC_Lm5ESE_iEESJ_PSD_iiiiiiiii: ; @_ZN2at6native12_GLOBAL__N_128conv_depthwise3d_cuda_kernelIN3c108BFloat16EfLin1ELin1ELin1ELi1ELi1ELi1EEEvN5torch10headeronly6detail27GenericPackedTensorAccessorINS7_14TensorAccessorINS3_8ArrayRefIlEEKT_Lm4ENS6_16DefaultPtrTraitsEiEENS_6detail16IndexBoundsCheckILm5EiEESD_Lm5ESE_iEENS8_INS9_ISB_SC_Lm4ESE_iEESI_SC_Lm5ESE_iEESJ_PSD_iiiiiiiii
; %bb.0:
	s_load_dwordx4 s[8:11], s[0:1], 0xc
	s_load_dwordx4 s[12:15], s[0:1], 0x38
	s_load_dwordx2 s[6:7], s[0:1], 0x48
	s_load_dword s4, s[0:1], 0xcc
	v_mov_b32_e32 v3, s2
	s_waitcnt lgkmcnt(0)
	s_abs_i32 s5, s8
	v_cvt_f32_u32_e32 v2, s5
	s_add_u32 s2, s0, 0xc0
	v_mov_b32_e32 v1, 0
	s_mul_i32 s34, s7, s12
	v_rcp_iflag_f32_e32 v2, v2
	s_addc_u32 s3, s1, 0
	s_and_b32 s4, s4, 0xffff
	v_mad_u64_u32 v[0:1], s[16:17], s4, v3, v[0:1]
	v_mul_f32_e32 v2, 0x4f7ffffe, v2
	v_cvt_u32_f32_e32 v2, v2
	s_ashr_i32 s35, s34, 31
	v_cmp_gt_i64_e32 vcc, s[34:35], v[0:1]
	v_readfirstlane_b32 s16, v2
	s_and_saveexec_b64 s[18:19], vcc
	s_cbranch_execz .LBB10_17
; %bb.1:
	s_sub_i32 s17, 0, s5
	s_mul_i32 s17, s17, s16
	s_mul_hi_u32 s17, s16, s17
	s_ashr_i32 s24, s8, 31
	s_abs_i32 s8, s13
	s_add_i32 s16, s16, s17
	s_ashr_i32 s12, s13, 31
	s_mul_hi_u32 s25, s8, s16
	s_load_dwordx2 s[38:39], s[0:1], 0x90
	s_load_dwordx4 s[16:19], s[0:1], 0x98
	s_load_dwordx2 s[40:41], s[0:1], 0xa8
	s_load_dwordx4 s[20:23], s[0:1], 0x70
	s_waitcnt lgkmcnt(0)
	s_xor_b32 s23, s12, s24
	s_mul_i32 s24, s25, s5
	s_sub_i32 s24, s8, s24
	s_add_i32 s26, s25, 1
	s_sub_i32 s27, s24, s5
	s_cmp_ge_u32 s24, s5
	s_cselect_b32 s25, s26, s25
	s_cselect_b32 s24, s27, s24
	s_add_i32 s26, s25, 1
	s_cmp_ge_u32 s24, s5
	s_cselect_b32 s5, s26, s25
	s_xor_b32 s5, s5, s23
	s_sub_i32 s5, s5, s23
	s_cmp_gt_i32 s20, 0
	s_cselect_b64 s[44:45], -1, 0
	s_cmp_gt_i32 s21, 0
	s_cselect_b64 s[46:47], -1, 0
	s_cmp_gt_i32 s22, 0
	s_load_dword s36, s[2:3], 0x0
	s_load_dword s23, s[0:1], 0x7c
	s_load_dwordx2 s[42:43], s[0:1], 0x0
	s_load_dwordx4 s[24:27], s[0:1], 0x1c
	s_cselect_b64 s[48:49], -1, 0
	s_sub_i32 s2, s10, s21
	s_sub_i32 s50, s11, s22
	s_mul_i32 s52, s11, s2
	s_ashr_i32 s51, s50, 31
	s_ashr_i32 s53, s52, 31
	s_cmp_lg_u64 s[38:39], 0
	s_cselect_b64 s[54:55], -1, 0
	s_abs_i32 s33, s6
	v_cvt_f32_u32_e32 v2, s33
	s_abs_i32 s65, s15
	v_cvt_f32_u32_e32 v3, s65
	s_load_dword s64, s[0:1], 0x2c
	s_load_dwordx2 s[56:57], s[0:1], 0x30
	v_rcp_iflag_f32_e32 v2, v2
	s_load_dwordx2 s[60:61], s[0:1], 0x60
	s_load_dwordx4 s[28:31], s[0:1], 0x50
	v_rcp_iflag_f32_e32 v3, v3
	s_sub_i32 s0, 0, s33
	v_mul_f32_e32 v2, 0x4f7ffffe, v2
	v_cvt_u32_f32_e32 v2, v2
	s_abs_i32 s67, s14
	s_abs_i32 s70, s5
	v_cvt_f32_u32_e32 v5, s70
	v_mul_lo_u32 v4, s0, v2
	v_mul_hi_u32 v4, v2, v4
	v_add_u32_e32 v8, v2, v4
	v_mul_f32_e32 v2, 0x4f7ffffe, v3
	v_cvt_f32_u32_e32 v3, s67
	v_cvt_u32_f32_e32 v2, v2
	s_sub_i32 s0, 0, s65
	s_mov_b32 s37, 0
	v_rcp_iflag_f32_e32 v3, v3
	v_mul_lo_u32 v4, s0, v2
	v_mul_hi_u32 v4, v2, v4
	v_add_u32_e32 v9, v2, v4
	v_mul_f32_e32 v2, 0x4f7ffffe, v3
	v_cvt_u32_f32_e32 v2, v2
	v_cvt_f32_u32_e32 v3, s8
	s_sub_i32 s0, 0, s67
	s_mov_b64 s[58:59], 0
	v_mul_lo_u32 v4, s0, v2
	v_rcp_iflag_f32_e32 v3, v3
	v_mul_hi_u32 v4, v2, v4
	v_add_u32_e32 v10, v2, v4
	v_rcp_iflag_f32_e32 v2, v5
	v_mul_f32_e32 v3, 0x4f7ffffe, v3
	v_cvt_u32_f32_e32 v3, v3
	s_sub_i32 s0, 0, s8
	v_mul_f32_e32 v2, 0x4f7ffffe, v2
	v_cvt_u32_f32_e32 v2, v2
	v_mul_lo_u32 v4, s0, v3
	v_mul_hi_u32 v4, v3, v4
	s_sub_i32 s0, 0, s70
	v_add_u32_e32 v11, v3, v4
	v_mul_lo_u32 v3, s0, v2
	v_mul_hi_u32 v3, v2, v3
	s_waitcnt lgkmcnt(0)
	s_mul_i32 s36, s36, s4
	s_ashr_i32 s66, s6, 31
	s_ashr_i32 s68, s15, 31
	;; [unrolled: 1-line block ×4, first 2 shown]
	v_add_u32_e32 v12, v2, v3
	s_movk_i32 s72, 0x7fff
	v_mov_b32_e32 v13, 0x7fc0
	s_branch .LBB10_3
.LBB10_2:                               ;   in Loop: Header=BB10_3 Depth=1
	v_bfe_u32 v3, v21, 16, 1
	v_mul_lo_u32 v4, v17, s7
	v_add3_u32 v3, v21, v3, s72
	v_cmp_o_f32_e32 vcc, v21, v21
	v_ashrrev_i32_e32 v5, 31, v4
	v_mul_lo_u32 v2, s28, v2
	v_cndmask_b32_sdwa v6, v13, v3, vcc dst_sel:DWORD dst_unused:UNUSED_PAD src0_sel:DWORD src1_sel:WORD_1
	v_lshl_add_u64 v[4:5], v[4:5], 1, s[56:57]
	v_ashrrev_i32_e32 v3, 31, v2
	v_lshl_add_u64 v[2:3], v[2:3], 1, v[4:5]
	v_mul_lo_u32 v4, s29, v16
	v_ashrrev_i32_e32 v5, 31, v4
	v_lshl_add_u64 v[2:3], v[4:5], 1, v[2:3]
	v_mul_lo_u32 v4, s30, v15
	;; [unrolled: 3-line block ×3, first 2 shown]
	v_lshl_add_u64 v[0:1], v[0:1], 0, s[36:37]
	v_ashrrev_i32_e32 v5, 31, v4
	v_cmp_le_i64_e32 vcc, s[34:35], v[0:1]
	v_lshl_add_u64 v[2:3], v[4:5], 1, v[2:3]
	s_or_b64 s[58:59], vcc, s[58:59]
	global_store_short v[2:3], v6, off
	s_andn2_b64 exec, exec, s[58:59]
	s_cbranch_execz .LBB10_17
.LBB10_3:                               ; =>This Loop Header: Depth=1
                                        ;     Child Loop BB10_6 Depth 2
                                        ;       Child Loop BB10_9 Depth 3
                                        ;         Child Loop BB10_12 Depth 4
	v_sub_u32_e32 v3, 0, v0
	v_max_i32_e32 v3, v0, v3
	v_mul_hi_u32 v4, v3, v8
	v_mul_lo_u32 v5, v4, s33
	v_sub_u32_e32 v3, v3, v5
	v_add_u32_e32 v5, 1, v4
	v_cmp_le_u32_e32 vcc, s33, v3
	v_ashrrev_i32_e32 v2, 31, v0
	v_xor_b32_e32 v2, s66, v2
	v_cndmask_b32_e32 v4, v4, v5, vcc
	v_subrev_u32_e32 v5, s33, v3
	v_cndmask_b32_e32 v3, v3, v5, vcc
	v_add_u32_e32 v5, 1, v4
	v_cmp_le_u32_e32 vcc, s33, v3
	s_nop 1
	v_cndmask_b32_e32 v3, v4, v5, vcc
	v_xor_b32_e32 v3, v3, v2
	v_sub_u32_e32 v2, v3, v2
	v_sub_u32_e32 v4, 0, v2
	v_max_i32_e32 v4, v2, v4
	v_mul_hi_u32 v5, v4, v9
	v_mul_lo_u32 v6, v5, s65
	v_sub_u32_e32 v4, v4, v6
	v_add_u32_e32 v6, 1, v5
	v_cmp_le_u32_e32 vcc, s65, v4
	v_mul_lo_u32 v3, v2, s6
	v_sub_u32_e32 v14, v0, v3
	v_cndmask_b32_e32 v5, v5, v6, vcc
	v_subrev_u32_e32 v6, s65, v4
	v_cndmask_b32_e32 v4, v4, v6, vcc
	v_ashrrev_i32_e32 v3, 31, v2
	v_add_u32_e32 v6, 1, v5
	v_cmp_le_u32_e32 vcc, s65, v4
	v_xor_b32_e32 v3, s68, v3
	s_nop 0
	v_cndmask_b32_e32 v4, v5, v6, vcc
	v_xor_b32_e32 v4, v4, v3
	v_sub_u32_e32 v3, v4, v3
	v_mul_lo_u32 v4, v3, s15
	v_sub_u32_e32 v15, v2, v4
	v_sub_u32_e32 v4, 0, v3
	v_max_i32_e32 v4, v3, v4
	v_mul_hi_u32 v5, v4, v10
	v_mul_lo_u32 v6, v5, s67
	v_sub_u32_e32 v4, v4, v6
	v_add_u32_e32 v6, 1, v5
	v_cmp_le_u32_e32 vcc, s67, v4
	v_ashrrev_i32_e32 v2, 31, v3
	v_xor_b32_e32 v2, s69, v2
	v_cndmask_b32_e32 v5, v5, v6, vcc
	v_subrev_u32_e32 v6, s67, v4
	v_cndmask_b32_e32 v4, v4, v6, vcc
	v_add_u32_e32 v6, 1, v5
	v_cmp_le_u32_e32 vcc, s67, v4
	s_nop 1
	v_cndmask_b32_e32 v4, v5, v6, vcc
	v_xor_b32_e32 v4, v4, v2
	v_sub_u32_e32 v2, v4, v2
	v_mul_lo_u32 v4, v2, s14
	v_sub_u32_e32 v16, v3, v4
	v_sub_u32_e32 v4, 0, v2
	v_max_i32_e32 v4, v2, v4
	v_mul_hi_u32 v5, v4, v11
	v_mul_lo_u32 v6, v5, s8
	v_sub_u32_e32 v4, v4, v6
	v_add_u32_e32 v6, 1, v5
	v_cmp_le_u32_e32 vcc, s8, v4
	v_ashrrev_i32_e32 v3, 31, v2
	v_xor_b32_e32 v3, s12, v3
	v_cndmask_b32_e32 v5, v5, v6, vcc
	v_subrev_u32_e32 v6, s8, v4
	v_cndmask_b32_e32 v4, v4, v6, vcc
	v_add_u32_e32 v6, 1, v5
	v_cmp_le_u32_e32 vcc, s8, v4
	s_nop 1
	v_cndmask_b32_e32 v4, v5, v6, vcc
	v_xor_b32_e32 v4, v4, v3
	v_sub_u32_e32 v17, v4, v3
	v_mul_lo_u32 v3, v17, s13
	v_sub_u32_e32 v2, v2, v3
	s_andn2_b64 vcc, exec, s[44:45]
	v_ashrrev_i32_e32 v3, 31, v2
	s_cbranch_vccnz .LBB10_14
; %bb.4:                                ;   in Loop: Header=BB10_3 Depth=1
	v_sub_u32_e32 v7, 0, v2
	v_max_i32_e32 v7, v2, v7
	v_mul_hi_u32 v21, v7, v12
	v_mul_lo_u32 v22, v21, s70
	v_sub_u32_e32 v7, v7, v22
	v_add_u32_e32 v22, 1, v21
	v_cmp_le_u32_e32 vcc, s70, v7
	v_mul_lo_u32 v4, v14, s18
	v_subrev_u32_e32 v18, s41, v4
	v_cndmask_b32_e32 v21, v21, v22, vcc
	v_subrev_u32_e32 v22, s70, v7
	v_cndmask_b32_e32 v7, v7, v22, vcc
	v_add_u32_e32 v22, 1, v21
	v_cmp_le_u32_e32 vcc, s70, v7
	v_mul_lo_u32 v4, v15, s17
	v_xor_b32_e32 v6, s71, v3
	v_cndmask_b32_e32 v7, v21, v22, vcc
	v_subrev_u32_e32 v19, s40, v4
	v_mul_lo_u32 v4, v16, s16
	v_xor_b32_e32 v7, v7, v6
	v_subrev_u32_e32 v20, s19, v4
	v_mul_lo_u32 v4, s24, v17
	v_sub_u32_e32 v6, v7, v6
	v_ashrrev_i32_e32 v5, 31, v4
	v_mul_lo_u32 v6, s25, v6
	v_lshl_add_u64 v[4:5], v[4:5], 1, s[42:43]
	v_ashrrev_i32_e32 v7, 31, v6
	v_lshl_add_u64 v[4:5], v[6:7], 1, v[4:5]
	v_mul_lo_u32 v6, s26, v20
	v_ashrrev_i32_e32 v7, 31, v6
	v_lshl_add_u64 v[4:5], v[6:7], 1, v[4:5]
	v_mul_lo_u32 v6, s27, v19
	;; [unrolled: 3-line block ×4, first 2 shown]
	v_ashrrev_i32_e32 v7, 31, v6
	s_mov_b32 s73, 0
	v_lshl_add_u64 v[6:7], v[6:7], 1, s[60:61]
	v_mov_b32_e32 v21, 0
	s_branch .LBB10_6
.LBB10_5:                               ;   in Loop: Header=BB10_6 Depth=2
	s_add_i32 s73, s73, 1
	s_cmp_eq_u32 s73, s20
	v_lshl_add_u64 v[4:5], s[52:53], 1, v[4:5]
	s_cbranch_scc1 .LBB10_15
.LBB10_6:                               ;   Parent Loop BB10_3 Depth=1
                                        ; =>  This Loop Header: Depth=2
                                        ;       Child Loop BB10_9 Depth 3
                                        ;         Child Loop BB10_12 Depth 4
	s_andn2_b64 vcc, exec, s[46:47]
	s_cbranch_vccnz .LBB10_5
; %bb.7:                                ;   in Loop: Header=BB10_6 Depth=2
	v_add_u32_e32 v22, s73, v20
	v_cmp_lt_i32_e64 s[0:1], -1, v22
	v_cmp_gt_i32_e64 s[2:3], s9, v22
	s_mov_b32 s74, 0
	s_branch .LBB10_9
.LBB10_8:                               ;   in Loop: Header=BB10_9 Depth=3
	s_add_i32 s74, s74, 1
	s_cmp_eq_u32 s74, s21
	v_lshl_add_u64 v[4:5], s[50:51], 1, v[4:5]
	s_cbranch_scc1 .LBB10_5
.LBB10_9:                               ;   Parent Loop BB10_3 Depth=1
                                        ;     Parent Loop BB10_6 Depth=2
                                        ; =>    This Loop Header: Depth=3
                                        ;         Child Loop BB10_12 Depth 4
	s_andn2_b64 vcc, exec, s[48:49]
	s_cbranch_vccnz .LBB10_8
; %bb.10:                               ;   in Loop: Header=BB10_9 Depth=3
	v_add_u32_e32 v22, s74, v19
	v_cmp_lt_i32_e32 vcc, -1, v22
	s_and_b64 s[62:63], s[0:1], vcc
	v_cmp_gt_i32_e32 vcc, s10, v22
	v_mov_b32_e32 v22, v18
	s_mov_b32 s75, s22
	s_branch .LBB10_12
.LBB10_11:                              ;   in Loop: Header=BB10_12 Depth=4
	s_or_b64 exec, exec, s[4:5]
	s_add_i32 s75, s75, -1
	v_lshl_add_u64 v[6:7], v[6:7], 0, 2
	v_lshl_add_u64 v[4:5], v[4:5], 0, 2
	s_cmp_eq_u32 s75, 0
	v_add_u32_e32 v22, 1, v22
	s_cbranch_scc1 .LBB10_8
.LBB10_12:                              ;   Parent Loop BB10_3 Depth=1
                                        ;     Parent Loop BB10_6 Depth=2
                                        ;       Parent Loop BB10_9 Depth=3
                                        ; =>      This Inner Loop Header: Depth=4
	v_cmp_lt_i32_e64 s[4:5], -1, v22
	s_and_b64 s[4:5], s[62:63], s[4:5]
	s_and_b64 s[4:5], s[4:5], s[2:3]
	s_and_b64 s[76:77], s[4:5], vcc
	v_cmp_gt_i32_e64 s[4:5], s11, v22
	s_and_b64 s[76:77], s[76:77], s[4:5]
	s_and_saveexec_b64 s[4:5], s[76:77]
	s_cbranch_execz .LBB10_11
; %bb.13:                               ;   in Loop: Header=BB10_12 Depth=4
	global_load_ushort v23, v[6:7], off
	global_load_ushort v24, v[4:5], off
	s_waitcnt vmcnt(1)
	v_lshlrev_b32_e32 v23, 16, v23
	s_waitcnt vmcnt(0)
	v_lshlrev_b32_e32 v24, 16, v24
	v_fmac_f32_e32 v21, v24, v23
	s_branch .LBB10_11
.LBB10_14:                              ;   in Loop: Header=BB10_3 Depth=1
	v_mov_b32_e32 v21, 0
.LBB10_15:                              ;   in Loop: Header=BB10_3 Depth=1
	s_and_b64 vcc, exec, s[54:55]
	s_cbranch_vccz .LBB10_2
; %bb.16:                               ;   in Loop: Header=BB10_3 Depth=1
	v_lshl_add_u64 v[4:5], v[2:3], 1, s[38:39]
	global_load_ushort v3, v[4:5], off
	s_waitcnt vmcnt(0)
	v_lshlrev_b32_e32 v3, 16, v3
	v_add_f32_e32 v21, v21, v3
	s_branch .LBB10_2
.LBB10_17:
	s_endpgm
	.section	.rodata,"a",@progbits
	.p2align	6, 0x0
	.amdhsa_kernel _ZN2at6native12_GLOBAL__N_128conv_depthwise3d_cuda_kernelIN3c108BFloat16EfLin1ELin1ELin1ELi1ELi1ELi1EEEvN5torch10headeronly6detail27GenericPackedTensorAccessorINS7_14TensorAccessorINS3_8ArrayRefIlEEKT_Lm4ENS6_16DefaultPtrTraitsEiEENS_6detail16IndexBoundsCheckILm5EiEESD_Lm5ESE_iEENS8_INS9_ISB_SC_Lm4ESE_iEESI_SC_Lm5ESE_iEESJ_PSD_iiiiiiiii
		.amdhsa_group_segment_fixed_size 0
		.amdhsa_private_segment_fixed_size 0
		.amdhsa_kernarg_size 448
		.amdhsa_user_sgpr_count 2
		.amdhsa_user_sgpr_dispatch_ptr 0
		.amdhsa_user_sgpr_queue_ptr 0
		.amdhsa_user_sgpr_kernarg_segment_ptr 1
		.amdhsa_user_sgpr_dispatch_id 0
		.amdhsa_user_sgpr_kernarg_preload_length 0
		.amdhsa_user_sgpr_kernarg_preload_offset 0
		.amdhsa_user_sgpr_private_segment_size 0
		.amdhsa_uses_dynamic_stack 0
		.amdhsa_enable_private_segment 0
		.amdhsa_system_sgpr_workgroup_id_x 1
		.amdhsa_system_sgpr_workgroup_id_y 0
		.amdhsa_system_sgpr_workgroup_id_z 0
		.amdhsa_system_sgpr_workgroup_info 0
		.amdhsa_system_vgpr_workitem_id 0
		.amdhsa_next_free_vgpr 25
		.amdhsa_next_free_sgpr 78
		.amdhsa_accum_offset 28
		.amdhsa_reserve_vcc 1
		.amdhsa_float_round_mode_32 0
		.amdhsa_float_round_mode_16_64 0
		.amdhsa_float_denorm_mode_32 3
		.amdhsa_float_denorm_mode_16_64 3
		.amdhsa_dx10_clamp 1
		.amdhsa_ieee_mode 1
		.amdhsa_fp16_overflow 0
		.amdhsa_tg_split 0
		.amdhsa_exception_fp_ieee_invalid_op 0
		.amdhsa_exception_fp_denorm_src 0
		.amdhsa_exception_fp_ieee_div_zero 0
		.amdhsa_exception_fp_ieee_overflow 0
		.amdhsa_exception_fp_ieee_underflow 0
		.amdhsa_exception_fp_ieee_inexact 0
		.amdhsa_exception_int_div_zero 0
	.end_amdhsa_kernel
	.section	.text._ZN2at6native12_GLOBAL__N_128conv_depthwise3d_cuda_kernelIN3c108BFloat16EfLin1ELin1ELin1ELi1ELi1ELi1EEEvN5torch10headeronly6detail27GenericPackedTensorAccessorINS7_14TensorAccessorINS3_8ArrayRefIlEEKT_Lm4ENS6_16DefaultPtrTraitsEiEENS_6detail16IndexBoundsCheckILm5EiEESD_Lm5ESE_iEENS8_INS9_ISB_SC_Lm4ESE_iEESI_SC_Lm5ESE_iEESJ_PSD_iiiiiiiii,"axG",@progbits,_ZN2at6native12_GLOBAL__N_128conv_depthwise3d_cuda_kernelIN3c108BFloat16EfLin1ELin1ELin1ELi1ELi1ELi1EEEvN5torch10headeronly6detail27GenericPackedTensorAccessorINS7_14TensorAccessorINS3_8ArrayRefIlEEKT_Lm4ENS6_16DefaultPtrTraitsEiEENS_6detail16IndexBoundsCheckILm5EiEESD_Lm5ESE_iEENS8_INS9_ISB_SC_Lm4ESE_iEESI_SC_Lm5ESE_iEESJ_PSD_iiiiiiiii,comdat
.Lfunc_end10:
	.size	_ZN2at6native12_GLOBAL__N_128conv_depthwise3d_cuda_kernelIN3c108BFloat16EfLin1ELin1ELin1ELi1ELi1ELi1EEEvN5torch10headeronly6detail27GenericPackedTensorAccessorINS7_14TensorAccessorINS3_8ArrayRefIlEEKT_Lm4ENS6_16DefaultPtrTraitsEiEENS_6detail16IndexBoundsCheckILm5EiEESD_Lm5ESE_iEENS8_INS9_ISB_SC_Lm4ESE_iEESI_SC_Lm5ESE_iEESJ_PSD_iiiiiiiii, .Lfunc_end10-_ZN2at6native12_GLOBAL__N_128conv_depthwise3d_cuda_kernelIN3c108BFloat16EfLin1ELin1ELin1ELi1ELi1ELi1EEEvN5torch10headeronly6detail27GenericPackedTensorAccessorINS7_14TensorAccessorINS3_8ArrayRefIlEEKT_Lm4ENS6_16DefaultPtrTraitsEiEENS_6detail16IndexBoundsCheckILm5EiEESD_Lm5ESE_iEENS8_INS9_ISB_SC_Lm4ESE_iEESI_SC_Lm5ESE_iEESJ_PSD_iiiiiiiii
                                        ; -- End function
	.set _ZN2at6native12_GLOBAL__N_128conv_depthwise3d_cuda_kernelIN3c108BFloat16EfLin1ELin1ELin1ELi1ELi1ELi1EEEvN5torch10headeronly6detail27GenericPackedTensorAccessorINS7_14TensorAccessorINS3_8ArrayRefIlEEKT_Lm4ENS6_16DefaultPtrTraitsEiEENS_6detail16IndexBoundsCheckILm5EiEESD_Lm5ESE_iEENS8_INS9_ISB_SC_Lm4ESE_iEESI_SC_Lm5ESE_iEESJ_PSD_iiiiiiiii.num_vgpr, 25
	.set _ZN2at6native12_GLOBAL__N_128conv_depthwise3d_cuda_kernelIN3c108BFloat16EfLin1ELin1ELin1ELi1ELi1ELi1EEEvN5torch10headeronly6detail27GenericPackedTensorAccessorINS7_14TensorAccessorINS3_8ArrayRefIlEEKT_Lm4ENS6_16DefaultPtrTraitsEiEENS_6detail16IndexBoundsCheckILm5EiEESD_Lm5ESE_iEENS8_INS9_ISB_SC_Lm4ESE_iEESI_SC_Lm5ESE_iEESJ_PSD_iiiiiiiii.num_agpr, 0
	.set _ZN2at6native12_GLOBAL__N_128conv_depthwise3d_cuda_kernelIN3c108BFloat16EfLin1ELin1ELin1ELi1ELi1ELi1EEEvN5torch10headeronly6detail27GenericPackedTensorAccessorINS7_14TensorAccessorINS3_8ArrayRefIlEEKT_Lm4ENS6_16DefaultPtrTraitsEiEENS_6detail16IndexBoundsCheckILm5EiEESD_Lm5ESE_iEENS8_INS9_ISB_SC_Lm4ESE_iEESI_SC_Lm5ESE_iEESJ_PSD_iiiiiiiii.numbered_sgpr, 78
	.set _ZN2at6native12_GLOBAL__N_128conv_depthwise3d_cuda_kernelIN3c108BFloat16EfLin1ELin1ELin1ELi1ELi1ELi1EEEvN5torch10headeronly6detail27GenericPackedTensorAccessorINS7_14TensorAccessorINS3_8ArrayRefIlEEKT_Lm4ENS6_16DefaultPtrTraitsEiEENS_6detail16IndexBoundsCheckILm5EiEESD_Lm5ESE_iEENS8_INS9_ISB_SC_Lm4ESE_iEESI_SC_Lm5ESE_iEESJ_PSD_iiiiiiiii.num_named_barrier, 0
	.set _ZN2at6native12_GLOBAL__N_128conv_depthwise3d_cuda_kernelIN3c108BFloat16EfLin1ELin1ELin1ELi1ELi1ELi1EEEvN5torch10headeronly6detail27GenericPackedTensorAccessorINS7_14TensorAccessorINS3_8ArrayRefIlEEKT_Lm4ENS6_16DefaultPtrTraitsEiEENS_6detail16IndexBoundsCheckILm5EiEESD_Lm5ESE_iEENS8_INS9_ISB_SC_Lm4ESE_iEESI_SC_Lm5ESE_iEESJ_PSD_iiiiiiiii.private_seg_size, 0
	.set _ZN2at6native12_GLOBAL__N_128conv_depthwise3d_cuda_kernelIN3c108BFloat16EfLin1ELin1ELin1ELi1ELi1ELi1EEEvN5torch10headeronly6detail27GenericPackedTensorAccessorINS7_14TensorAccessorINS3_8ArrayRefIlEEKT_Lm4ENS6_16DefaultPtrTraitsEiEENS_6detail16IndexBoundsCheckILm5EiEESD_Lm5ESE_iEENS8_INS9_ISB_SC_Lm4ESE_iEESI_SC_Lm5ESE_iEESJ_PSD_iiiiiiiii.uses_vcc, 1
	.set _ZN2at6native12_GLOBAL__N_128conv_depthwise3d_cuda_kernelIN3c108BFloat16EfLin1ELin1ELin1ELi1ELi1ELi1EEEvN5torch10headeronly6detail27GenericPackedTensorAccessorINS7_14TensorAccessorINS3_8ArrayRefIlEEKT_Lm4ENS6_16DefaultPtrTraitsEiEENS_6detail16IndexBoundsCheckILm5EiEESD_Lm5ESE_iEENS8_INS9_ISB_SC_Lm4ESE_iEESI_SC_Lm5ESE_iEESJ_PSD_iiiiiiiii.uses_flat_scratch, 0
	.set _ZN2at6native12_GLOBAL__N_128conv_depthwise3d_cuda_kernelIN3c108BFloat16EfLin1ELin1ELin1ELi1ELi1ELi1EEEvN5torch10headeronly6detail27GenericPackedTensorAccessorINS7_14TensorAccessorINS3_8ArrayRefIlEEKT_Lm4ENS6_16DefaultPtrTraitsEiEENS_6detail16IndexBoundsCheckILm5EiEESD_Lm5ESE_iEENS8_INS9_ISB_SC_Lm4ESE_iEESI_SC_Lm5ESE_iEESJ_PSD_iiiiiiiii.has_dyn_sized_stack, 0
	.set _ZN2at6native12_GLOBAL__N_128conv_depthwise3d_cuda_kernelIN3c108BFloat16EfLin1ELin1ELin1ELi1ELi1ELi1EEEvN5torch10headeronly6detail27GenericPackedTensorAccessorINS7_14TensorAccessorINS3_8ArrayRefIlEEKT_Lm4ENS6_16DefaultPtrTraitsEiEENS_6detail16IndexBoundsCheckILm5EiEESD_Lm5ESE_iEENS8_INS9_ISB_SC_Lm4ESE_iEESI_SC_Lm5ESE_iEESJ_PSD_iiiiiiiii.has_recursion, 0
	.set _ZN2at6native12_GLOBAL__N_128conv_depthwise3d_cuda_kernelIN3c108BFloat16EfLin1ELin1ELin1ELi1ELi1ELi1EEEvN5torch10headeronly6detail27GenericPackedTensorAccessorINS7_14TensorAccessorINS3_8ArrayRefIlEEKT_Lm4ENS6_16DefaultPtrTraitsEiEENS_6detail16IndexBoundsCheckILm5EiEESD_Lm5ESE_iEENS8_INS9_ISB_SC_Lm4ESE_iEESI_SC_Lm5ESE_iEESJ_PSD_iiiiiiiii.has_indirect_call, 0
	.section	.AMDGPU.csdata,"",@progbits
; Kernel info:
; codeLenInByte = 1696
; TotalNumSgprs: 84
; NumVgprs: 25
; NumAgprs: 0
; TotalNumVgprs: 25
; ScratchSize: 0
; MemoryBound: 0
; FloatMode: 240
; IeeeMode: 1
; LDSByteSize: 0 bytes/workgroup (compile time only)
; SGPRBlocks: 10
; VGPRBlocks: 3
; NumSGPRsForWavesPerEU: 84
; NumVGPRsForWavesPerEU: 25
; AccumOffset: 28
; Occupancy: 8
; WaveLimiterHint : 0
; COMPUTE_PGM_RSRC2:SCRATCH_EN: 0
; COMPUTE_PGM_RSRC2:USER_SGPR: 2
; COMPUTE_PGM_RSRC2:TRAP_HANDLER: 0
; COMPUTE_PGM_RSRC2:TGID_X_EN: 1
; COMPUTE_PGM_RSRC2:TGID_Y_EN: 0
; COMPUTE_PGM_RSRC2:TGID_Z_EN: 0
; COMPUTE_PGM_RSRC2:TIDIG_COMP_CNT: 0
; COMPUTE_PGM_RSRC3_GFX90A:ACCUM_OFFSET: 6
; COMPUTE_PGM_RSRC3_GFX90A:TG_SPLIT: 0
	.section	.text._ZN2at6native12_GLOBAL__N_128conv_depthwise3d_cuda_kernelIN3c108BFloat16EfLin1ELin1ELin1ELin1ELin1ELin1EEEvN5torch10headeronly6detail27GenericPackedTensorAccessorINS7_14TensorAccessorINS3_8ArrayRefIlEEKT_Lm4ENS6_16DefaultPtrTraitsEiEENS_6detail16IndexBoundsCheckILm5EiEESD_Lm5ESE_iEENS8_INS9_ISB_SC_Lm4ESE_iEESI_SC_Lm5ESE_iEESJ_PSD_iiiiiiiii,"axG",@progbits,_ZN2at6native12_GLOBAL__N_128conv_depthwise3d_cuda_kernelIN3c108BFloat16EfLin1ELin1ELin1ELin1ELin1ELin1EEEvN5torch10headeronly6detail27GenericPackedTensorAccessorINS7_14TensorAccessorINS3_8ArrayRefIlEEKT_Lm4ENS6_16DefaultPtrTraitsEiEENS_6detail16IndexBoundsCheckILm5EiEESD_Lm5ESE_iEENS8_INS9_ISB_SC_Lm4ESE_iEESI_SC_Lm5ESE_iEESJ_PSD_iiiiiiiii,comdat
	.globl	_ZN2at6native12_GLOBAL__N_128conv_depthwise3d_cuda_kernelIN3c108BFloat16EfLin1ELin1ELin1ELin1ELin1ELin1EEEvN5torch10headeronly6detail27GenericPackedTensorAccessorINS7_14TensorAccessorINS3_8ArrayRefIlEEKT_Lm4ENS6_16DefaultPtrTraitsEiEENS_6detail16IndexBoundsCheckILm5EiEESD_Lm5ESE_iEENS8_INS9_ISB_SC_Lm4ESE_iEESI_SC_Lm5ESE_iEESJ_PSD_iiiiiiiii ; -- Begin function _ZN2at6native12_GLOBAL__N_128conv_depthwise3d_cuda_kernelIN3c108BFloat16EfLin1ELin1ELin1ELin1ELin1ELin1EEEvN5torch10headeronly6detail27GenericPackedTensorAccessorINS7_14TensorAccessorINS3_8ArrayRefIlEEKT_Lm4ENS6_16DefaultPtrTraitsEiEENS_6detail16IndexBoundsCheckILm5EiEESD_Lm5ESE_iEENS8_INS9_ISB_SC_Lm4ESE_iEESI_SC_Lm5ESE_iEESJ_PSD_iiiiiiiii
	.p2align	8
	.type	_ZN2at6native12_GLOBAL__N_128conv_depthwise3d_cuda_kernelIN3c108BFloat16EfLin1ELin1ELin1ELin1ELin1ELin1EEEvN5torch10headeronly6detail27GenericPackedTensorAccessorINS7_14TensorAccessorINS3_8ArrayRefIlEEKT_Lm4ENS6_16DefaultPtrTraitsEiEENS_6detail16IndexBoundsCheckILm5EiEESD_Lm5ESE_iEENS8_INS9_ISB_SC_Lm4ESE_iEESI_SC_Lm5ESE_iEESJ_PSD_iiiiiiiii,@function
_ZN2at6native12_GLOBAL__N_128conv_depthwise3d_cuda_kernelIN3c108BFloat16EfLin1ELin1ELin1ELin1ELin1ELin1EEEvN5torch10headeronly6detail27GenericPackedTensorAccessorINS7_14TensorAccessorINS3_8ArrayRefIlEEKT_Lm4ENS6_16DefaultPtrTraitsEiEENS_6detail16IndexBoundsCheckILm5EiEESD_Lm5ESE_iEENS8_INS9_ISB_SC_Lm4ESE_iEESI_SC_Lm5ESE_iEESJ_PSD_iiiiiiiii: ; @_ZN2at6native12_GLOBAL__N_128conv_depthwise3d_cuda_kernelIN3c108BFloat16EfLin1ELin1ELin1ELin1ELin1ELin1EEEvN5torch10headeronly6detail27GenericPackedTensorAccessorINS7_14TensorAccessorINS3_8ArrayRefIlEEKT_Lm4ENS6_16DefaultPtrTraitsEiEENS_6detail16IndexBoundsCheckILm5EiEESD_Lm5ESE_iEENS8_INS9_ISB_SC_Lm4ESE_iEESI_SC_Lm5ESE_iEESJ_PSD_iiiiiiiii
; %bb.0:
	s_load_dwordx4 s[16:19], s[0:1], 0xc
	s_load_dwordx4 s[20:23], s[0:1], 0x38
	s_load_dwordx2 s[6:7], s[0:1], 0x48
	s_load_dword s4, s[0:1], 0xcc
	v_mov_b32_e32 v3, s2
	s_waitcnt lgkmcnt(0)
	s_abs_i32 s5, s16
	v_cvt_f32_u32_e32 v2, s5
	s_add_u32 s2, s0, 0xc0
	v_mov_b32_e32 v1, 0
	s_mul_i32 s34, s7, s20
	v_rcp_iflag_f32_e32 v2, v2
	s_addc_u32 s3, s1, 0
	s_and_b32 s4, s4, 0xffff
	v_mad_u64_u32 v[0:1], s[8:9], s4, v3, v[0:1]
	v_mul_f32_e32 v2, 0x4f7ffffe, v2
	v_cvt_u32_f32_e32 v2, v2
	s_ashr_i32 s35, s34, 31
	v_cmp_gt_i64_e32 vcc, s[34:35], v[0:1]
	v_readfirstlane_b32 s8, v2
	s_and_saveexec_b64 s[10:11], vcc
	s_cbranch_execz .LBB11_17
; %bb.1:
	s_sub_i32 s9, 0, s5
	s_mul_i32 s9, s9, s8
	s_mul_hi_u32 s9, s8, s9
	s_ashr_i32 s28, s16, 31
	s_abs_i32 s16, s21
	s_add_i32 s8, s8, s9
	s_ashr_i32 s20, s21, 31
	s_mul_hi_u32 s29, s16, s8
	s_load_dwordx2 s[42:43], s[0:1], 0x90
	s_load_dwordx8 s[8:15], s[0:1], 0x98
	s_load_dword s44, s[0:1], 0xb8
	s_load_dwordx4 s[24:27], s[0:1], 0x70
	s_waitcnt lgkmcnt(0)
	s_xor_b32 s27, s20, s28
	s_mul_i32 s28, s29, s5
	s_sub_i32 s28, s16, s28
	s_add_i32 s30, s29, 1
	s_sub_i32 s31, s28, s5
	s_cmp_ge_u32 s28, s5
	s_cselect_b32 s29, s30, s29
	s_cselect_b32 s28, s31, s28
	s_add_i32 s30, s29, 1
	s_cmp_ge_u32 s28, s5
	s_cselect_b32 s5, s30, s29
	s_xor_b32 s5, s5, s27
	s_sub_i32 s5, s5, s27
	s_cmp_gt_i32 s24, 0
	s_cselect_b64 s[48:49], -1, 0
	s_cmp_gt_i32 s25, 0
	s_load_dword s40, s[2:3], 0x0
	s_load_dword s27, s[0:1], 0x7c
	s_load_dwordx2 s[46:47], s[0:1], 0x0
	s_load_dwordx4 s[28:31], s[0:1], 0x1c
	s_cselect_b64 s[50:51], -1, 0
	s_cmp_gt_i32 s26, 0
	s_mul_i32 s2, s19, s15
	s_mul_i32 s3, s26, s44
	s_cselect_b64 s[52:53], -1, 0
	s_sub_i32 s54, s2, s3
	s_mul_i32 s2, s18, s14
	s_mul_i32 s3, s25, s15
	s_sub_i32 s2, s2, s3
	s_mul_i32 s56, s2, s19
	s_ashr_i32 s45, s44, 31
	s_ashr_i32 s55, s54, 31
	;; [unrolled: 1-line block ×3, first 2 shown]
	s_cmp_lg_u64 s[42:43], 0
	s_cselect_b64 s[58:59], -1, 0
	s_abs_i32 s33, s6
	v_cvt_f32_u32_e32 v2, s33
	s_abs_i32 s71, s23
	v_cvt_f32_u32_e32 v3, s71
	s_load_dword s70, s[0:1], 0x2c
	s_load_dwordx2 s[60:61], s[0:1], 0x30
	v_rcp_iflag_f32_e32 v2, v2
	s_load_dwordx2 s[64:65], s[0:1], 0x60
	s_load_dwordx4 s[36:39], s[0:1], 0x50
	v_rcp_iflag_f32_e32 v3, v3
	s_sub_i32 s0, 0, s33
	v_mul_f32_e32 v2, 0x4f7ffffe, v2
	v_cvt_u32_f32_e32 v2, v2
	s_abs_i32 s73, s22
	s_abs_i32 s76, s5
	v_cvt_f32_u32_e32 v5, s76
	v_mul_lo_u32 v4, s0, v2
	v_mul_hi_u32 v4, v2, v4
	v_add_u32_e32 v8, v2, v4
	v_mul_f32_e32 v2, 0x4f7ffffe, v3
	v_cvt_f32_u32_e32 v3, s73
	v_cvt_u32_f32_e32 v2, v2
	s_sub_i32 s0, 0, s71
	s_mov_b32 s41, 0
	v_rcp_iflag_f32_e32 v3, v3
	v_mul_lo_u32 v4, s0, v2
	v_mul_hi_u32 v4, v2, v4
	v_add_u32_e32 v9, v2, v4
	v_mul_f32_e32 v2, 0x4f7ffffe, v3
	v_cvt_u32_f32_e32 v2, v2
	v_cvt_f32_u32_e32 v3, s16
	s_sub_i32 s0, 0, s73
	s_mov_b64 s[62:63], 0
	v_mul_lo_u32 v4, s0, v2
	v_rcp_iflag_f32_e32 v3, v3
	v_mul_hi_u32 v4, v2, v4
	v_add_u32_e32 v10, v2, v4
	v_rcp_iflag_f32_e32 v2, v5
	v_mul_f32_e32 v3, 0x4f7ffffe, v3
	v_cvt_u32_f32_e32 v3, v3
	s_sub_i32 s0, 0, s16
	v_mul_f32_e32 v2, 0x4f7ffffe, v2
	v_cvt_u32_f32_e32 v2, v2
	v_mul_lo_u32 v4, s0, v3
	v_mul_hi_u32 v4, v3, v4
	s_sub_i32 s0, 0, s76
	v_add_u32_e32 v11, v3, v4
	v_mul_lo_u32 v3, s0, v2
	v_mul_hi_u32 v3, v2, v3
	s_waitcnt lgkmcnt(0)
	s_mul_i32 s40, s40, s4
	s_ashr_i32 s72, s6, 31
	s_ashr_i32 s74, s23, 31
	;; [unrolled: 1-line block ×4, first 2 shown]
	v_add_u32_e32 v12, v2, v3
	s_lshl_b64 s[66:67], s[44:45], 1
	s_movk_i32 s45, 0x7fff
	v_mov_b32_e32 v13, 0x7fc0
	s_branch .LBB11_3
.LBB11_2:                               ;   in Loop: Header=BB11_3 Depth=1
	v_bfe_u32 v3, v21, 16, 1
	v_mul_lo_u32 v4, v17, s7
	v_add3_u32 v3, v21, v3, s45
	v_cmp_o_f32_e32 vcc, v21, v21
	v_ashrrev_i32_e32 v5, 31, v4
	v_mul_lo_u32 v2, s36, v2
	v_cndmask_b32_sdwa v6, v13, v3, vcc dst_sel:DWORD dst_unused:UNUSED_PAD src0_sel:DWORD src1_sel:WORD_1
	v_lshl_add_u64 v[4:5], v[4:5], 1, s[60:61]
	v_ashrrev_i32_e32 v3, 31, v2
	v_lshl_add_u64 v[2:3], v[2:3], 1, v[4:5]
	v_mul_lo_u32 v4, s37, v16
	v_ashrrev_i32_e32 v5, 31, v4
	v_lshl_add_u64 v[2:3], v[4:5], 1, v[2:3]
	v_mul_lo_u32 v4, s38, v15
	;; [unrolled: 3-line block ×3, first 2 shown]
	v_lshl_add_u64 v[0:1], v[0:1], 0, s[40:41]
	v_ashrrev_i32_e32 v5, 31, v4
	v_cmp_le_i64_e32 vcc, s[34:35], v[0:1]
	v_lshl_add_u64 v[2:3], v[4:5], 1, v[2:3]
	s_or_b64 s[62:63], vcc, s[62:63]
	global_store_short v[2:3], v6, off
	s_andn2_b64 exec, exec, s[62:63]
	s_cbranch_execz .LBB11_17
.LBB11_3:                               ; =>This Loop Header: Depth=1
                                        ;     Child Loop BB11_6 Depth 2
                                        ;       Child Loop BB11_9 Depth 3
                                        ;         Child Loop BB11_12 Depth 4
	v_sub_u32_e32 v3, 0, v0
	v_max_i32_e32 v3, v0, v3
	v_mul_hi_u32 v4, v3, v8
	v_mul_lo_u32 v5, v4, s33
	v_sub_u32_e32 v3, v3, v5
	v_add_u32_e32 v5, 1, v4
	v_cmp_le_u32_e32 vcc, s33, v3
	v_ashrrev_i32_e32 v2, 31, v0
	v_xor_b32_e32 v2, s72, v2
	v_cndmask_b32_e32 v4, v4, v5, vcc
	v_subrev_u32_e32 v5, s33, v3
	v_cndmask_b32_e32 v3, v3, v5, vcc
	v_add_u32_e32 v5, 1, v4
	v_cmp_le_u32_e32 vcc, s33, v3
	s_nop 1
	v_cndmask_b32_e32 v3, v4, v5, vcc
	v_xor_b32_e32 v3, v3, v2
	v_sub_u32_e32 v2, v3, v2
	v_sub_u32_e32 v4, 0, v2
	v_max_i32_e32 v4, v2, v4
	v_mul_hi_u32 v5, v4, v9
	v_mul_lo_u32 v6, v5, s71
	v_sub_u32_e32 v4, v4, v6
	v_add_u32_e32 v6, 1, v5
	v_cmp_le_u32_e32 vcc, s71, v4
	v_mul_lo_u32 v3, v2, s6
	v_sub_u32_e32 v14, v0, v3
	v_cndmask_b32_e32 v5, v5, v6, vcc
	v_subrev_u32_e32 v6, s71, v4
	v_cndmask_b32_e32 v4, v4, v6, vcc
	v_ashrrev_i32_e32 v3, 31, v2
	v_add_u32_e32 v6, 1, v5
	v_cmp_le_u32_e32 vcc, s71, v4
	v_xor_b32_e32 v3, s74, v3
	s_nop 0
	v_cndmask_b32_e32 v4, v5, v6, vcc
	v_xor_b32_e32 v4, v4, v3
	v_sub_u32_e32 v3, v4, v3
	v_mul_lo_u32 v4, v3, s23
	v_sub_u32_e32 v15, v2, v4
	v_sub_u32_e32 v4, 0, v3
	v_max_i32_e32 v4, v3, v4
	v_mul_hi_u32 v5, v4, v10
	v_mul_lo_u32 v6, v5, s73
	v_sub_u32_e32 v4, v4, v6
	v_add_u32_e32 v6, 1, v5
	v_cmp_le_u32_e32 vcc, s73, v4
	v_ashrrev_i32_e32 v2, 31, v3
	v_xor_b32_e32 v2, s75, v2
	v_cndmask_b32_e32 v5, v5, v6, vcc
	v_subrev_u32_e32 v6, s73, v4
	v_cndmask_b32_e32 v4, v4, v6, vcc
	v_add_u32_e32 v6, 1, v5
	v_cmp_le_u32_e32 vcc, s73, v4
	s_nop 1
	v_cndmask_b32_e32 v4, v5, v6, vcc
	v_xor_b32_e32 v4, v4, v2
	v_sub_u32_e32 v2, v4, v2
	v_mul_lo_u32 v4, v2, s22
	v_sub_u32_e32 v16, v3, v4
	v_sub_u32_e32 v4, 0, v2
	v_max_i32_e32 v4, v2, v4
	v_mul_hi_u32 v5, v4, v11
	v_mul_lo_u32 v6, v5, s16
	v_sub_u32_e32 v4, v4, v6
	v_add_u32_e32 v6, 1, v5
	v_cmp_le_u32_e32 vcc, s16, v4
	v_ashrrev_i32_e32 v3, 31, v2
	v_xor_b32_e32 v3, s20, v3
	v_cndmask_b32_e32 v5, v5, v6, vcc
	v_subrev_u32_e32 v6, s16, v4
	v_cndmask_b32_e32 v4, v4, v6, vcc
	v_add_u32_e32 v6, 1, v5
	v_cmp_le_u32_e32 vcc, s16, v4
	s_nop 1
	v_cndmask_b32_e32 v4, v5, v6, vcc
	v_xor_b32_e32 v4, v4, v3
	v_sub_u32_e32 v17, v4, v3
	v_mul_lo_u32 v3, v17, s21
	v_sub_u32_e32 v2, v2, v3
	s_andn2_b64 vcc, exec, s[48:49]
	v_ashrrev_i32_e32 v3, 31, v2
	s_cbranch_vccnz .LBB11_14
; %bb.4:                                ;   in Loop: Header=BB11_3 Depth=1
	v_sub_u32_e32 v7, 0, v2
	v_max_i32_e32 v7, v2, v7
	v_mul_hi_u32 v21, v7, v12
	v_mul_lo_u32 v22, v21, s76
	v_sub_u32_e32 v7, v7, v22
	v_add_u32_e32 v22, 1, v21
	v_cmp_le_u32_e32 vcc, s76, v7
	v_mul_lo_u32 v4, v14, s10
	v_subrev_u32_e32 v18, s13, v4
	v_cndmask_b32_e32 v21, v21, v22, vcc
	v_subrev_u32_e32 v22, s76, v7
	v_cndmask_b32_e32 v7, v7, v22, vcc
	v_add_u32_e32 v22, 1, v21
	v_cmp_le_u32_e32 vcc, s76, v7
	v_mul_lo_u32 v4, v15, s9
	v_xor_b32_e32 v6, s77, v3
	v_cndmask_b32_e32 v7, v21, v22, vcc
	v_subrev_u32_e32 v19, s12, v4
	v_mul_lo_u32 v4, v16, s8
	v_xor_b32_e32 v7, v7, v6
	v_subrev_u32_e32 v20, s11, v4
	v_mul_lo_u32 v4, s28, v17
	v_sub_u32_e32 v6, v7, v6
	v_ashrrev_i32_e32 v5, 31, v4
	v_mul_lo_u32 v6, s29, v6
	v_lshl_add_u64 v[4:5], v[4:5], 1, s[46:47]
	v_ashrrev_i32_e32 v7, 31, v6
	v_lshl_add_u64 v[4:5], v[6:7], 1, v[4:5]
	v_mul_lo_u32 v6, s30, v20
	v_ashrrev_i32_e32 v7, 31, v6
	v_lshl_add_u64 v[4:5], v[6:7], 1, v[4:5]
	v_mul_lo_u32 v6, s31, v19
	;; [unrolled: 3-line block ×4, first 2 shown]
	v_ashrrev_i32_e32 v7, 31, v6
	s_mov_b32 s78, 0
	v_lshl_add_u64 v[6:7], v[6:7], 1, s[64:65]
	v_mov_b32_e32 v21, 0
	s_branch .LBB11_6
.LBB11_5:                               ;   in Loop: Header=BB11_6 Depth=2
	s_add_i32 s78, s78, 1
	s_cmp_eq_u32 s78, s24
	v_lshl_add_u64 v[4:5], s[56:57], 1, v[4:5]
	s_cbranch_scc1 .LBB11_15
.LBB11_6:                               ;   Parent Loop BB11_3 Depth=1
                                        ; =>  This Loop Header: Depth=2
                                        ;       Child Loop BB11_9 Depth 3
                                        ;         Child Loop BB11_12 Depth 4
	s_andn2_b64 vcc, exec, s[50:51]
	s_cbranch_vccnz .LBB11_5
; %bb.7:                                ;   in Loop: Header=BB11_6 Depth=2
	s_mul_i32 s0, s78, s14
	v_add_u32_e32 v22, s0, v20
	v_cmp_lt_i32_e64 s[0:1], -1, v22
	v_cmp_gt_i32_e64 s[2:3], s17, v22
	s_mov_b32 s79, 0
	s_branch .LBB11_9
.LBB11_8:                               ;   in Loop: Header=BB11_9 Depth=3
	s_add_i32 s79, s79, 1
	s_cmp_eq_u32 s79, s25
	v_lshl_add_u64 v[4:5], s[54:55], 1, v[4:5]
	s_cbranch_scc1 .LBB11_5
.LBB11_9:                               ;   Parent Loop BB11_3 Depth=1
                                        ;     Parent Loop BB11_6 Depth=2
                                        ; =>    This Loop Header: Depth=3
                                        ;         Child Loop BB11_12 Depth 4
	s_andn2_b64 vcc, exec, s[52:53]
	s_cbranch_vccnz .LBB11_8
; %bb.10:                               ;   in Loop: Header=BB11_9 Depth=3
	s_mul_i32 s4, s79, s15
	v_add_u32_e32 v22, s4, v19
	v_cmp_lt_i32_e32 vcc, -1, v22
	s_and_b64 s[68:69], s[0:1], vcc
	v_cmp_gt_i32_e32 vcc, s18, v22
	v_mov_b32_e32 v22, v18
	s_mov_b32 s80, s26
	s_branch .LBB11_12
.LBB11_11:                              ;   in Loop: Header=BB11_12 Depth=4
	s_or_b64 exec, exec, s[4:5]
	s_add_i32 s80, s80, -1
	v_lshl_add_u64 v[6:7], v[6:7], 0, 2
	v_add_u32_e32 v22, s44, v22
	s_cmp_eq_u32 s80, 0
	v_lshl_add_u64 v[4:5], v[4:5], 0, s[66:67]
	s_cbranch_scc1 .LBB11_8
.LBB11_12:                              ;   Parent Loop BB11_3 Depth=1
                                        ;     Parent Loop BB11_6 Depth=2
                                        ;       Parent Loop BB11_9 Depth=3
                                        ; =>      This Inner Loop Header: Depth=4
	v_cmp_lt_i32_e64 s[4:5], -1, v22
	s_and_b64 s[4:5], s[68:69], s[4:5]
	s_and_b64 s[4:5], s[4:5], s[2:3]
	s_and_b64 s[82:83], s[4:5], vcc
	v_cmp_gt_i32_e64 s[4:5], s19, v22
	s_and_b64 s[82:83], s[82:83], s[4:5]
	s_and_saveexec_b64 s[4:5], s[82:83]
	s_cbranch_execz .LBB11_11
; %bb.13:                               ;   in Loop: Header=BB11_12 Depth=4
	global_load_ushort v23, v[6:7], off
	global_load_ushort v24, v[4:5], off
	s_waitcnt vmcnt(1)
	v_lshlrev_b32_e32 v23, 16, v23
	s_waitcnt vmcnt(0)
	v_lshlrev_b32_e32 v24, 16, v24
	v_fmac_f32_e32 v21, v24, v23
	s_branch .LBB11_11
.LBB11_14:                              ;   in Loop: Header=BB11_3 Depth=1
	v_mov_b32_e32 v21, 0
.LBB11_15:                              ;   in Loop: Header=BB11_3 Depth=1
	s_and_b64 vcc, exec, s[58:59]
	s_cbranch_vccz .LBB11_2
; %bb.16:                               ;   in Loop: Header=BB11_3 Depth=1
	v_lshl_add_u64 v[4:5], v[2:3], 1, s[42:43]
	global_load_ushort v3, v[4:5], off
	s_waitcnt vmcnt(0)
	v_lshlrev_b32_e32 v3, 16, v3
	v_add_f32_e32 v21, v21, v3
	s_branch .LBB11_2
.LBB11_17:
	s_endpgm
	.section	.rodata,"a",@progbits
	.p2align	6, 0x0
	.amdhsa_kernel _ZN2at6native12_GLOBAL__N_128conv_depthwise3d_cuda_kernelIN3c108BFloat16EfLin1ELin1ELin1ELin1ELin1ELin1EEEvN5torch10headeronly6detail27GenericPackedTensorAccessorINS7_14TensorAccessorINS3_8ArrayRefIlEEKT_Lm4ENS6_16DefaultPtrTraitsEiEENS_6detail16IndexBoundsCheckILm5EiEESD_Lm5ESE_iEENS8_INS9_ISB_SC_Lm4ESE_iEESI_SC_Lm5ESE_iEESJ_PSD_iiiiiiiii
		.amdhsa_group_segment_fixed_size 0
		.amdhsa_private_segment_fixed_size 0
		.amdhsa_kernarg_size 448
		.amdhsa_user_sgpr_count 2
		.amdhsa_user_sgpr_dispatch_ptr 0
		.amdhsa_user_sgpr_queue_ptr 0
		.amdhsa_user_sgpr_kernarg_segment_ptr 1
		.amdhsa_user_sgpr_dispatch_id 0
		.amdhsa_user_sgpr_kernarg_preload_length 0
		.amdhsa_user_sgpr_kernarg_preload_offset 0
		.amdhsa_user_sgpr_private_segment_size 0
		.amdhsa_uses_dynamic_stack 0
		.amdhsa_enable_private_segment 0
		.amdhsa_system_sgpr_workgroup_id_x 1
		.amdhsa_system_sgpr_workgroup_id_y 0
		.amdhsa_system_sgpr_workgroup_id_z 0
		.amdhsa_system_sgpr_workgroup_info 0
		.amdhsa_system_vgpr_workitem_id 0
		.amdhsa_next_free_vgpr 25
		.amdhsa_next_free_sgpr 84
		.amdhsa_accum_offset 28
		.amdhsa_reserve_vcc 1
		.amdhsa_float_round_mode_32 0
		.amdhsa_float_round_mode_16_64 0
		.amdhsa_float_denorm_mode_32 3
		.amdhsa_float_denorm_mode_16_64 3
		.amdhsa_dx10_clamp 1
		.amdhsa_ieee_mode 1
		.amdhsa_fp16_overflow 0
		.amdhsa_tg_split 0
		.amdhsa_exception_fp_ieee_invalid_op 0
		.amdhsa_exception_fp_denorm_src 0
		.amdhsa_exception_fp_ieee_div_zero 0
		.amdhsa_exception_fp_ieee_overflow 0
		.amdhsa_exception_fp_ieee_underflow 0
		.amdhsa_exception_fp_ieee_inexact 0
		.amdhsa_exception_int_div_zero 0
	.end_amdhsa_kernel
	.section	.text._ZN2at6native12_GLOBAL__N_128conv_depthwise3d_cuda_kernelIN3c108BFloat16EfLin1ELin1ELin1ELin1ELin1ELin1EEEvN5torch10headeronly6detail27GenericPackedTensorAccessorINS7_14TensorAccessorINS3_8ArrayRefIlEEKT_Lm4ENS6_16DefaultPtrTraitsEiEENS_6detail16IndexBoundsCheckILm5EiEESD_Lm5ESE_iEENS8_INS9_ISB_SC_Lm4ESE_iEESI_SC_Lm5ESE_iEESJ_PSD_iiiiiiiii,"axG",@progbits,_ZN2at6native12_GLOBAL__N_128conv_depthwise3d_cuda_kernelIN3c108BFloat16EfLin1ELin1ELin1ELin1ELin1ELin1EEEvN5torch10headeronly6detail27GenericPackedTensorAccessorINS7_14TensorAccessorINS3_8ArrayRefIlEEKT_Lm4ENS6_16DefaultPtrTraitsEiEENS_6detail16IndexBoundsCheckILm5EiEESD_Lm5ESE_iEENS8_INS9_ISB_SC_Lm4ESE_iEESI_SC_Lm5ESE_iEESJ_PSD_iiiiiiiii,comdat
.Lfunc_end11:
	.size	_ZN2at6native12_GLOBAL__N_128conv_depthwise3d_cuda_kernelIN3c108BFloat16EfLin1ELin1ELin1ELin1ELin1ELin1EEEvN5torch10headeronly6detail27GenericPackedTensorAccessorINS7_14TensorAccessorINS3_8ArrayRefIlEEKT_Lm4ENS6_16DefaultPtrTraitsEiEENS_6detail16IndexBoundsCheckILm5EiEESD_Lm5ESE_iEENS8_INS9_ISB_SC_Lm4ESE_iEESI_SC_Lm5ESE_iEESJ_PSD_iiiiiiiii, .Lfunc_end11-_ZN2at6native12_GLOBAL__N_128conv_depthwise3d_cuda_kernelIN3c108BFloat16EfLin1ELin1ELin1ELin1ELin1ELin1EEEvN5torch10headeronly6detail27GenericPackedTensorAccessorINS7_14TensorAccessorINS3_8ArrayRefIlEEKT_Lm4ENS6_16DefaultPtrTraitsEiEENS_6detail16IndexBoundsCheckILm5EiEESD_Lm5ESE_iEENS8_INS9_ISB_SC_Lm4ESE_iEESI_SC_Lm5ESE_iEESJ_PSD_iiiiiiiii
                                        ; -- End function
	.set _ZN2at6native12_GLOBAL__N_128conv_depthwise3d_cuda_kernelIN3c108BFloat16EfLin1ELin1ELin1ELin1ELin1ELin1EEEvN5torch10headeronly6detail27GenericPackedTensorAccessorINS7_14TensorAccessorINS3_8ArrayRefIlEEKT_Lm4ENS6_16DefaultPtrTraitsEiEENS_6detail16IndexBoundsCheckILm5EiEESD_Lm5ESE_iEENS8_INS9_ISB_SC_Lm4ESE_iEESI_SC_Lm5ESE_iEESJ_PSD_iiiiiiiii.num_vgpr, 25
	.set _ZN2at6native12_GLOBAL__N_128conv_depthwise3d_cuda_kernelIN3c108BFloat16EfLin1ELin1ELin1ELin1ELin1ELin1EEEvN5torch10headeronly6detail27GenericPackedTensorAccessorINS7_14TensorAccessorINS3_8ArrayRefIlEEKT_Lm4ENS6_16DefaultPtrTraitsEiEENS_6detail16IndexBoundsCheckILm5EiEESD_Lm5ESE_iEENS8_INS9_ISB_SC_Lm4ESE_iEESI_SC_Lm5ESE_iEESJ_PSD_iiiiiiiii.num_agpr, 0
	.set _ZN2at6native12_GLOBAL__N_128conv_depthwise3d_cuda_kernelIN3c108BFloat16EfLin1ELin1ELin1ELin1ELin1ELin1EEEvN5torch10headeronly6detail27GenericPackedTensorAccessorINS7_14TensorAccessorINS3_8ArrayRefIlEEKT_Lm4ENS6_16DefaultPtrTraitsEiEENS_6detail16IndexBoundsCheckILm5EiEESD_Lm5ESE_iEENS8_INS9_ISB_SC_Lm4ESE_iEESI_SC_Lm5ESE_iEESJ_PSD_iiiiiiiii.numbered_sgpr, 84
	.set _ZN2at6native12_GLOBAL__N_128conv_depthwise3d_cuda_kernelIN3c108BFloat16EfLin1ELin1ELin1ELin1ELin1ELin1EEEvN5torch10headeronly6detail27GenericPackedTensorAccessorINS7_14TensorAccessorINS3_8ArrayRefIlEEKT_Lm4ENS6_16DefaultPtrTraitsEiEENS_6detail16IndexBoundsCheckILm5EiEESD_Lm5ESE_iEENS8_INS9_ISB_SC_Lm4ESE_iEESI_SC_Lm5ESE_iEESJ_PSD_iiiiiiiii.num_named_barrier, 0
	.set _ZN2at6native12_GLOBAL__N_128conv_depthwise3d_cuda_kernelIN3c108BFloat16EfLin1ELin1ELin1ELin1ELin1ELin1EEEvN5torch10headeronly6detail27GenericPackedTensorAccessorINS7_14TensorAccessorINS3_8ArrayRefIlEEKT_Lm4ENS6_16DefaultPtrTraitsEiEENS_6detail16IndexBoundsCheckILm5EiEESD_Lm5ESE_iEENS8_INS9_ISB_SC_Lm4ESE_iEESI_SC_Lm5ESE_iEESJ_PSD_iiiiiiiii.private_seg_size, 0
	.set _ZN2at6native12_GLOBAL__N_128conv_depthwise3d_cuda_kernelIN3c108BFloat16EfLin1ELin1ELin1ELin1ELin1ELin1EEEvN5torch10headeronly6detail27GenericPackedTensorAccessorINS7_14TensorAccessorINS3_8ArrayRefIlEEKT_Lm4ENS6_16DefaultPtrTraitsEiEENS_6detail16IndexBoundsCheckILm5EiEESD_Lm5ESE_iEENS8_INS9_ISB_SC_Lm4ESE_iEESI_SC_Lm5ESE_iEESJ_PSD_iiiiiiiii.uses_vcc, 1
	.set _ZN2at6native12_GLOBAL__N_128conv_depthwise3d_cuda_kernelIN3c108BFloat16EfLin1ELin1ELin1ELin1ELin1ELin1EEEvN5torch10headeronly6detail27GenericPackedTensorAccessorINS7_14TensorAccessorINS3_8ArrayRefIlEEKT_Lm4ENS6_16DefaultPtrTraitsEiEENS_6detail16IndexBoundsCheckILm5EiEESD_Lm5ESE_iEENS8_INS9_ISB_SC_Lm4ESE_iEESI_SC_Lm5ESE_iEESJ_PSD_iiiiiiiii.uses_flat_scratch, 0
	.set _ZN2at6native12_GLOBAL__N_128conv_depthwise3d_cuda_kernelIN3c108BFloat16EfLin1ELin1ELin1ELin1ELin1ELin1EEEvN5torch10headeronly6detail27GenericPackedTensorAccessorINS7_14TensorAccessorINS3_8ArrayRefIlEEKT_Lm4ENS6_16DefaultPtrTraitsEiEENS_6detail16IndexBoundsCheckILm5EiEESD_Lm5ESE_iEENS8_INS9_ISB_SC_Lm4ESE_iEESI_SC_Lm5ESE_iEESJ_PSD_iiiiiiiii.has_dyn_sized_stack, 0
	.set _ZN2at6native12_GLOBAL__N_128conv_depthwise3d_cuda_kernelIN3c108BFloat16EfLin1ELin1ELin1ELin1ELin1ELin1EEEvN5torch10headeronly6detail27GenericPackedTensorAccessorINS7_14TensorAccessorINS3_8ArrayRefIlEEKT_Lm4ENS6_16DefaultPtrTraitsEiEENS_6detail16IndexBoundsCheckILm5EiEESD_Lm5ESE_iEENS8_INS9_ISB_SC_Lm4ESE_iEESI_SC_Lm5ESE_iEESJ_PSD_iiiiiiiii.has_recursion, 0
	.set _ZN2at6native12_GLOBAL__N_128conv_depthwise3d_cuda_kernelIN3c108BFloat16EfLin1ELin1ELin1ELin1ELin1ELin1EEEvN5torch10headeronly6detail27GenericPackedTensorAccessorINS7_14TensorAccessorINS3_8ArrayRefIlEEKT_Lm4ENS6_16DefaultPtrTraitsEiEENS_6detail16IndexBoundsCheckILm5EiEESD_Lm5ESE_iEENS8_INS9_ISB_SC_Lm4ESE_iEESI_SC_Lm5ESE_iEESJ_PSD_iiiiiiiii.has_indirect_call, 0
	.section	.AMDGPU.csdata,"",@progbits
; Kernel info:
; codeLenInByte = 1728
; TotalNumSgprs: 90
; NumVgprs: 25
; NumAgprs: 0
; TotalNumVgprs: 25
; ScratchSize: 0
; MemoryBound: 0
; FloatMode: 240
; IeeeMode: 1
; LDSByteSize: 0 bytes/workgroup (compile time only)
; SGPRBlocks: 11
; VGPRBlocks: 3
; NumSGPRsForWavesPerEU: 90
; NumVGPRsForWavesPerEU: 25
; AccumOffset: 28
; Occupancy: 8
; WaveLimiterHint : 0
; COMPUTE_PGM_RSRC2:SCRATCH_EN: 0
; COMPUTE_PGM_RSRC2:USER_SGPR: 2
; COMPUTE_PGM_RSRC2:TRAP_HANDLER: 0
; COMPUTE_PGM_RSRC2:TGID_X_EN: 1
; COMPUTE_PGM_RSRC2:TGID_Y_EN: 0
; COMPUTE_PGM_RSRC2:TGID_Z_EN: 0
; COMPUTE_PGM_RSRC2:TIDIG_COMP_CNT: 0
; COMPUTE_PGM_RSRC3_GFX90A:ACCUM_OFFSET: 6
; COMPUTE_PGM_RSRC3_GFX90A:TG_SPLIT: 0
	.section	.text._ZN2at6native12_GLOBAL__N_143conv_depthwise3d_cuda_backward_input_kernelIddLi3ELi3ELi3ELi1ELi1ELi1ELi1ELi1ELi1EEEvN5torch10headeronly6detail27GenericPackedTensorAccessorINS5_14TensorAccessorIN3c108ArrayRefIlEEKT_Lm4ENS4_16DefaultPtrTraitsEiEENS_6detail16IndexBoundsCheckILm5EiEESC_Lm5ESD_iEENS6_INS7_ISA_SB_Lm4ESD_iEESH_SB_Lm5ESD_iEESI_iiiiiiiii,"axG",@progbits,_ZN2at6native12_GLOBAL__N_143conv_depthwise3d_cuda_backward_input_kernelIddLi3ELi3ELi3ELi1ELi1ELi1ELi1ELi1ELi1EEEvN5torch10headeronly6detail27GenericPackedTensorAccessorINS5_14TensorAccessorIN3c108ArrayRefIlEEKT_Lm4ENS4_16DefaultPtrTraitsEiEENS_6detail16IndexBoundsCheckILm5EiEESC_Lm5ESD_iEENS6_INS7_ISA_SB_Lm4ESD_iEESH_SB_Lm5ESD_iEESI_iiiiiiiii,comdat
	.globl	_ZN2at6native12_GLOBAL__N_143conv_depthwise3d_cuda_backward_input_kernelIddLi3ELi3ELi3ELi1ELi1ELi1ELi1ELi1ELi1EEEvN5torch10headeronly6detail27GenericPackedTensorAccessorINS5_14TensorAccessorIN3c108ArrayRefIlEEKT_Lm4ENS4_16DefaultPtrTraitsEiEENS_6detail16IndexBoundsCheckILm5EiEESC_Lm5ESD_iEENS6_INS7_ISA_SB_Lm4ESD_iEESH_SB_Lm5ESD_iEESI_iiiiiiiii ; -- Begin function _ZN2at6native12_GLOBAL__N_143conv_depthwise3d_cuda_backward_input_kernelIddLi3ELi3ELi3ELi1ELi1ELi1ELi1ELi1ELi1EEEvN5torch10headeronly6detail27GenericPackedTensorAccessorINS5_14TensorAccessorIN3c108ArrayRefIlEEKT_Lm4ENS4_16DefaultPtrTraitsEiEENS_6detail16IndexBoundsCheckILm5EiEESC_Lm5ESD_iEENS6_INS7_ISA_SB_Lm4ESD_iEESH_SB_Lm5ESD_iEESI_iiiiiiiii
	.p2align	8
	.type	_ZN2at6native12_GLOBAL__N_143conv_depthwise3d_cuda_backward_input_kernelIddLi3ELi3ELi3ELi1ELi1ELi1ELi1ELi1ELi1EEEvN5torch10headeronly6detail27GenericPackedTensorAccessorINS5_14TensorAccessorIN3c108ArrayRefIlEEKT_Lm4ENS4_16DefaultPtrTraitsEiEENS_6detail16IndexBoundsCheckILm5EiEESC_Lm5ESD_iEENS6_INS7_ISA_SB_Lm4ESD_iEESH_SB_Lm5ESD_iEESI_iiiiiiiii,@function
_ZN2at6native12_GLOBAL__N_143conv_depthwise3d_cuda_backward_input_kernelIddLi3ELi3ELi3ELi1ELi1ELi1ELi1ELi1ELi1EEEvN5torch10headeronly6detail27GenericPackedTensorAccessorINS5_14TensorAccessorIN3c108ArrayRefIlEEKT_Lm4ENS4_16DefaultPtrTraitsEiEENS_6detail16IndexBoundsCheckILm5EiEESC_Lm5ESD_iEENS6_INS7_ISA_SB_Lm4ESD_iEESH_SB_Lm5ESD_iEESI_iiiiiiiii: ; @_ZN2at6native12_GLOBAL__N_143conv_depthwise3d_cuda_backward_input_kernelIddLi3ELi3ELi3ELi1ELi1ELi1ELi1ELi1ELi1EEEvN5torch10headeronly6detail27GenericPackedTensorAccessorINS5_14TensorAccessorIN3c108ArrayRefIlEEKT_Lm4ENS4_16DefaultPtrTraitsEiEENS_6detail16IndexBoundsCheckILm5EiEESC_Lm5ESD_iEENS6_INS7_ISA_SB_Lm4ESD_iEESH_SB_Lm5ESD_iEESI_iiiiiiiii
; %bb.0:
	s_load_dwordx4 s[12:15], s[0:1], 0x38
	s_load_dwordx2 s[28:29], s[0:1], 0x48
	s_load_dword s4, s[0:1], 0xc4
	v_mov_b32_e32 v3, s2
	v_mov_b32_e32 v1, 0
	s_waitcnt lgkmcnt(0)
	s_abs_i32 s33, s13
	v_cvt_f32_u32_e32 v2, s33
	s_add_u32 s2, s0, 0xb8
	s_mul_i32 s30, s29, s12
	s_addc_u32 s3, s1, 0
	v_rcp_iflag_f32_e32 v2, v2
	s_and_b32 s4, s4, 0xffff
	s_ashr_i32 s31, s30, 31
	v_mad_u64_u32 v[6:7], s[6:7], s4, v3, v[0:1]
	v_mul_f32_e32 v2, 0x4f7ffffe, v2
	v_cvt_u32_f32_e32 v2, v2
	v_cmp_gt_i64_e32 vcc, s[30:31], v[6:7]
	v_readfirstlane_b32 s5, v2
	s_and_saveexec_b64 s[6:7], vcc
	s_cbranch_execz .LBB12_62
; %bb.1:
	s_load_dwordx4 s[16:19], s[0:1], 0xc
	s_load_dwordx2 s[6:7], s[0:1], 0x0
	s_sub_i32 s8, 0, s33
                                        ; implicit-def: $vgpr127 : SGPR spill to VGPR lane
	s_mul_i32 s9, s8, s5
	s_mul_hi_u32 s9, s5, s9
	s_add_i32 s5, s5, s9
	s_waitcnt lgkmcnt(0)
	v_writelane_b32 v127, s6, 0
	s_ashr_i32 s12, s13, 31
	s_load_dwordx4 s[20:23], s[0:1], 0x9c
	v_writelane_b32 v127, s7, 1
	s_abs_i32 s7, s16
	s_mul_hi_u32 s5, s7, s5
	s_mul_i32 s9, s5, s33
	s_ashr_i32 s6, s16, 31
	s_sub_i32 s7, s7, s9
	s_xor_b32 s6, s6, s12
	s_add_i32 s9, s5, 1
	s_sub_i32 s10, s7, s33
	s_cmp_ge_u32 s7, s33
	s_cselect_b32 s5, s9, s5
	s_cselect_b32 s7, s10, s7
	s_add_i32 s9, s5, 1
	s_cmp_ge_u32 s7, s33
	s_cselect_b32 s5, s9, s5
	s_xor_b32 s5, s5, s6
	s_sub_i32 s16, s5, s6
	s_cmp_gt_i32 s16, 0
	s_load_dword s5, s[2:3], 0x0
	s_cselect_b64 s[2:3], -1, 0
	s_abs_i32 s94, s28
	v_cvt_f32_u32_e32 v0, s94
	s_waitcnt lgkmcnt(0)
	s_load_dword s23, s[0:1], 0x7c
	s_load_dwordx2 s[38:39], s[0:1], 0x1c
	s_load_dwordx2 s[40:41], s[0:1], 0x30
	;; [unrolled: 1-line block ×3, first 2 shown]
	s_load_dwordx4 s[24:27], s[0:1], 0x50
	s_abs_i32 s96, s15
	v_rcp_iflag_f32_e32 v0, v0
	s_sub_i32 s0, 0, s94
	v_cvt_f32_u32_e32 v1, s96
	s_abs_i32 s97, s14
	v_mul_f32_e32 v0, 0x4f7ffffe, v0
	v_cvt_u32_f32_e32 v0, v0
	v_rcp_iflag_f32_e32 v1, v1
	s_mov_b32 s35, 0
	s_mul_i32 s34, s5, s4
	v_mul_lo_u32 v3, s0, v0
	v_mul_hi_u32 v3, v0, v3
	v_add_u32_e32 v0, v0, v3
	scratch_store_dword off, v0, off offset:228 ; 4-byte Folded Spill
	v_cvt_f32_u32_e32 v0, s97
	v_mul_f32_e32 v1, 0x4f7ffffe, v1
	v_cvt_u32_f32_e32 v1, v1
	s_sub_i32 s0, 0, s96
	v_rcp_iflag_f32_e32 v0, v0
	s_ashr_i32 s95, s28, 31
	v_mul_lo_u32 v3, s0, v1
	v_mul_hi_u32 v3, v1, v3
	v_mul_f32_e32 v0, 0x4f7ffffe, v0
	v_cvt_u32_f32_e32 v0, v0
	v_add_u32_e32 v1, v1, v3
	s_sub_i32 s0, 0, s97
	scratch_store_dword off, v1, off offset:216 ; 4-byte Folded Spill
	v_mul_lo_u32 v1, s0, v0
	v_mul_hi_u32 v1, v0, v1
	v_add_u32_e32 v0, v0, v1
	scratch_store_dword off, v0, off offset:220 ; 4-byte Folded Spill
	v_mul_lo_u32 v0, s8, v2
	v_mul_hi_u32 v0, v2, v0
	v_add_u32_e32 v0, v2, v0
	scratch_store_dword off, v0, off offset:224 ; 4-byte Folded Spill
	v_cndmask_b32_e64 v0, 0, 1, s[2:3]
	s_ashr_i32 s98, s15, 31
	s_ashr_i32 s99, s14, 31
	s_mov_b64 s[44:45], 0
	v_cmp_ne_u32_e64 s[0:1], 1, v0
	s_branch .LBB12_4
.LBB12_2:                               ;   in Loop: Header=BB12_4 Depth=1
	s_or_b64 exec, exec, s[90:91]
	scratch_load_dwordx2 v[6:7], off, off offset:192 ; 8-byte Folded Reload
	scratch_load_dword v8, off, off offset:208 ; 4-byte Folded Reload
	scratch_load_dword v5, off, off offset:200 ; 4-byte Folded Reload
	;; [unrolled: 1-line block ×4, first 2 shown]
	v_mov_b32_e32 v30, v55
.LBB12_3:                               ;   in Loop: Header=BB12_4 Depth=1
	s_waitcnt vmcnt(0)
	v_mul_lo_u32 v0, v2, s29
	v_ashrrev_i32_e32 v1, 31, v0
	s_waitcnt lgkmcnt(0)
	v_mul_lo_u32 v2, s24, v30
	v_lshl_add_u64 v[0:1], v[0:1], 3, s[40:41]
	v_ashrrev_i32_e32 v3, 31, v2
	v_lshl_add_u64 v[0:1], v[2:3], 3, v[0:1]
	v_mul_lo_u32 v2, s25, v9
	v_ashrrev_i32_e32 v3, 31, v2
	v_lshl_add_u64 v[0:1], v[2:3], 3, v[0:1]
	v_mul_lo_u32 v2, s26, v5
	v_ashrrev_i32_e32 v3, 31, v2
	v_lshl_add_u64 v[0:1], v[2:3], 3, v[0:1]
	v_mul_lo_u32 v2, s27, v8
	v_lshl_add_u64 v[6:7], v[6:7], 0, s[34:35]
	v_ashrrev_i32_e32 v3, 31, v2
	v_cmp_le_i64_e32 vcc, s[30:31], v[6:7]
	v_lshl_add_u64 v[0:1], v[2:3], 3, v[0:1]
	s_or_b64 s[44:45], vcc, s[44:45]
	global_store_dwordx2 v[0:1], v[52:53], off
	s_andn2_b64 exec, exec, s[44:45]
	s_cbranch_execz .LBB12_62
.LBB12_4:                               ; =>This Loop Header: Depth=1
                                        ;     Child Loop BB12_7 Depth 2
	scratch_load_dword v2, off, off offset:228 ; 4-byte Folded Reload
	v_sub_u32_e32 v1, 0, v6
	v_max_i32_e32 v1, v6, v1
	v_ashrrev_i32_e32 v0, 31, v6
	v_xor_b32_e32 v0, s95, v0
	s_waitcnt vmcnt(0)
	v_mul_hi_u32 v2, v1, v2
	v_mul_lo_u32 v3, v2, s94
	v_sub_u32_e32 v1, v1, v3
	v_add_u32_e32 v3, 1, v2
	v_cmp_le_u32_e32 vcc, s94, v1
	s_nop 1
	v_cndmask_b32_e32 v2, v2, v3, vcc
	v_subrev_u32_e32 v3, s94, v1
	v_cndmask_b32_e32 v1, v1, v3, vcc
	v_add_u32_e32 v3, 1, v2
	v_cmp_le_u32_e32 vcc, s94, v1
	s_nop 1
	v_cndmask_b32_e32 v1, v2, v3, vcc
	scratch_load_dword v3, off, off offset:216 ; 4-byte Folded Reload
	v_xor_b32_e32 v1, v1, v0
	v_sub_u32_e32 v0, v1, v0
	v_sub_u32_e32 v2, 0, v0
	v_max_i32_e32 v2, v0, v2
	v_mul_lo_u32 v1, v0, s28
	v_sub_u32_e32 v8, v6, v1
	v_ashrrev_i32_e32 v1, 31, v0
	v_xor_b32_e32 v1, s98, v1
	s_waitcnt vmcnt(0)
	v_mul_hi_u32 v3, v2, v3
	v_mul_lo_u32 v4, v3, s96
	v_sub_u32_e32 v2, v2, v4
	v_add_u32_e32 v4, 1, v3
	v_cmp_le_u32_e32 vcc, s96, v2
	s_nop 1
	v_cndmask_b32_e32 v3, v3, v4, vcc
	v_subrev_u32_e32 v4, s96, v2
	v_cndmask_b32_e32 v2, v2, v4, vcc
	v_add_u32_e32 v4, 1, v3
	v_cmp_le_u32_e32 vcc, s96, v2
	s_nop 1
	v_cndmask_b32_e32 v2, v3, v4, vcc
	scratch_load_dword v3, off, off offset:220 ; 4-byte Folded Reload
	v_xor_b32_e32 v2, v2, v1
	v_sub_u32_e32 v1, v2, v1
	v_mul_lo_u32 v2, v1, s15
	v_sub_u32_e32 v5, v0, v2
	v_sub_u32_e32 v2, 0, v1
	v_max_i32_e32 v2, v1, v2
	v_ashrrev_i32_e32 v0, 31, v1
	v_xor_b32_e32 v0, s99, v0
	s_waitcnt vmcnt(0)
	v_mul_hi_u32 v3, v2, v3
	v_mul_lo_u32 v4, v3, s97
	v_sub_u32_e32 v2, v2, v4
	v_add_u32_e32 v4, 1, v3
	v_cmp_le_u32_e32 vcc, s97, v2
	s_nop 1
	v_cndmask_b32_e32 v3, v3, v4, vcc
	v_subrev_u32_e32 v4, s97, v2
	v_cndmask_b32_e32 v2, v2, v4, vcc
	v_add_u32_e32 v4, 1, v3
	v_cmp_le_u32_e32 vcc, s97, v2
	s_nop 1
	v_cndmask_b32_e32 v2, v3, v4, vcc
	scratch_load_dword v3, off, off offset:224 ; 4-byte Folded Reload
	v_xor_b32_e32 v2, v2, v0
	v_sub_u32_e32 v0, v2, v0
	v_mul_lo_u32 v2, v0, s14
	v_sub_u32_e32 v9, v1, v2
	v_sub_u32_e32 v2, 0, v0
	v_max_i32_e32 v2, v0, v2
	v_ashrrev_i32_e32 v1, 31, v0
	v_xor_b32_e32 v1, s12, v1
	s_waitcnt vmcnt(0)
	v_mul_hi_u32 v3, v2, v3
	v_mul_lo_u32 v4, v3, s33
	v_sub_u32_e32 v2, v2, v4
	v_add_u32_e32 v4, 1, v3
	v_cmp_le_u32_e32 vcc, s33, v2
	s_nop 1
	v_cndmask_b32_e32 v3, v3, v4, vcc
	v_subrev_u32_e32 v4, s33, v2
	v_cndmask_b32_e32 v2, v2, v4, vcc
	v_add_u32_e32 v4, 1, v3
	v_cmp_le_u32_e32 vcc, s33, v2
	s_nop 1
	v_cndmask_b32_e32 v2, v3, v4, vcc
	v_xor_b32_e32 v2, v2, v1
	v_sub_u32_e32 v2, v2, v1
	v_mul_lo_u32 v1, v2, s13
	s_and_b64 vcc, exec, s[0:1]
	v_sub_u32_e32 v30, v0, v1
	s_cbranch_vccnz .LBB12_61
; %bb.5:                                ;   in Loop: Header=BB12_4 Depth=1
	v_add_u32_e32 v4, s20, v9
	scratch_store_dwordx2 off, v[6:7], off offset:192 ; 8-byte Folded Spill
	scratch_store_dword off, v5, off offset:200 ; 4-byte Folded Spill
	v_add_u32_e32 v5, s21, v5
	v_mul_lo_u32 v6, v4, s18
	v_add_u32_e32 v0, s22, v8
	v_add_u32_e32 v1, v5, v6
	v_mul_lo_u32 v7, v1, s19
	v_or_b32_e32 v1, v0, v5
	v_add_u32_e32 v11, -2, v4
	v_add_u32_e32 v13, -1, v4
	v_or_b32_e32 v12, v1, v11
	v_or_b32_e32 v14, v1, v13
	;; [unrolled: 1-line block ×3, first 2 shown]
	v_cmp_gt_i32_e64 s[2:3], s18, v5
	v_cmp_lt_i32_e64 s[4:5], -1, v1
	v_cmp_gt_i32_e64 s[6:7], s19, v0
	v_add_u32_e32 v1, -1, v0
	scratch_store_dword off, v2, off offset:212 ; 4-byte Folded Spill
	s_waitcnt lgkmcnt(0)
	v_mul_lo_u32 v50, s38, v2
	s_and_b64 s[76:77], s[6:7], s[2:3]
	v_or_b32_e32 v2, v1, v5
	v_cmp_gt_i32_e32 vcc, s17, v4
	s_and_b64 s[4:5], s[76:77], s[4:5]
	v_or_b32_e32 v17, v2, v11
	v_or_b32_e32 v18, v2, v13
	;; [unrolled: 1-line block ×3, first 2 shown]
	s_and_b64 s[46:47], s[4:5], vcc
	v_cmp_lt_i32_e64 s[4:5], -1, v2
	v_cmp_gt_i32_e64 s[8:9], s19, v1
	v_add_u32_e32 v2, -2, v0
	s_and_b64 s[78:79], s[8:9], s[2:3]
	v_or_b32_e32 v21, v2, v5
	s_and_b64 s[4:5], s[78:79], s[4:5]
	v_or_b32_e32 v22, v21, v11
	v_or_b32_e32 v23, v21, v13
	;; [unrolled: 1-line block ×3, first 2 shown]
	v_cmp_gt_i32_e64 s[10:11], s19, v2
	scratch_store_dword off, v9, off offset:204 ; 4-byte Folded Spill
	v_add_u32_e32 v9, -1, v5
	s_and_b64 s[48:49], s[4:5], vcc
	v_cmp_lt_i32_e64 s[4:5], -1, v21
	s_and_b64 s[80:81], s[10:11], s[2:3]
	v_or_b32_e32 v10, v0, v9
	s_and_b64 s[2:3], s[80:81], s[4:5]
	s_and_b64 s[50:51], s[2:3], vcc
	v_cmp_gt_i32_e64 s[2:3], s18, v9
	v_or_b32_e32 v21, v10, v11
	v_or_b32_e32 v24, v10, v13
	;; [unrolled: 1-line block ×4, first 2 shown]
	v_cmp_lt_i32_e64 s[4:5], -1, v10
	s_and_b64 s[84:85], s[6:7], s[2:3]
	s_and_b64 s[4:5], s[84:85], s[4:5]
	v_or_b32_e32 v10, v16, v11
	v_or_b32_e32 v25, v16, v13
	;; [unrolled: 1-line block ×4, first 2 shown]
	s_and_b64 s[52:53], s[4:5], vcc
	v_cmp_lt_i32_e64 s[4:5], -1, v16
	s_and_b64 s[86:87], s[8:9], s[2:3]
	s_and_b64 s[4:5], s[86:87], s[4:5]
	v_or_b32_e32 v16, v20, v11
	v_or_b32_e32 v26, v20, v13
	;; [unrolled: 1-line block ×3, first 2 shown]
	v_add_u32_e32 v3, -2, v5
	s_and_b64 s[54:55], s[4:5], vcc
	v_cmp_lt_i32_e64 s[4:5], -1, v20
	s_and_b64 s[82:83], s[10:11], s[2:3]
	scratch_store_dword off, v8, off offset:208 ; 4-byte Folded Spill
	v_or_b32_e32 v8, v0, v3
	s_and_b64 s[2:3], s[82:83], s[4:5]
	s_and_b64 s[56:57], s[2:3], vcc
	v_cmp_gt_i32_e64 s[2:3], s18, v3
	v_or_b32_e32 v20, v8, v11
	v_or_b32_e32 v27, v8, v13
	;; [unrolled: 1-line block ×4, first 2 shown]
	v_cmp_lt_i32_e64 s[4:5], -1, v8
	s_and_b64 s[88:89], s[6:7], s[2:3]
	s_and_b64 s[4:5], s[88:89], s[4:5]
	v_or_b32_e32 v8, v15, v11
	v_or_b32_e32 v28, v15, v13
	;; [unrolled: 1-line block ×4, first 2 shown]
	s_and_b64 s[6:7], s[4:5], vcc
	v_cmp_lt_i32_e64 s[4:5], -1, v15
	s_and_b64 s[90:91], s[8:9], s[2:3]
	s_and_b64 s[4:5], s[90:91], s[4:5]
	v_or_b32_e32 v4, v19, v4
	s_and_b64 s[8:9], s[4:5], vcc
	v_cmp_lt_i32_e64 s[4:5], -1, v4
	s_and_b64 s[92:93], s[10:11], s[2:3]
	s_and_b64 s[2:3], s[92:93], s[4:5]
	s_and_b64 s[10:11], s[2:3], vcc
	v_cmp_lt_i32_e64 s[2:3], -1, v14
	v_cmp_gt_i32_e32 vcc, s17, v13
	s_and_b64 s[2:3], s[76:77], s[2:3]
	s_and_b64 s[58:59], s[2:3], vcc
	v_cmp_lt_i32_e64 s[2:3], -1, v18
	s_and_b64 s[2:3], s[78:79], s[2:3]
	s_and_b64 s[60:61], s[2:3], vcc
	v_cmp_lt_i32_e64 s[2:3], -1, v23
	;; [unrolled: 3-line block ×6, first 2 shown]
	s_and_b64 s[2:3], s[88:89], s[2:3]
	v_or_b32_e32 v29, v19, v13
	s_and_b64 s[70:71], s[2:3], vcc
	v_cmp_lt_i32_e64 s[2:3], -1, v28
	v_add_u32_e32 v32, v0, v7
	v_add_u32_e32 v34, v1, v7
	;; [unrolled: 1-line block ×4, first 2 shown]
	v_cmp_lt_i32_e64 s[4:5], -1, v29
	s_and_b64 s[2:3], s[90:91], s[2:3]
	v_mul_lo_u32 v7, v7, s19
	v_subrev_u32_e32 v4, s18, v6
	s_and_b64 s[72:73], s[2:3], vcc
	s_and_b64 s[2:3], s[92:93], s[4:5]
	v_add_u32_e32 v38, v0, v7
	v_add_u32_e32 v40, v1, v7
	;; [unrolled: 1-line block ×5, first 2 shown]
	s_and_b64 s[74:75], s[2:3], vcc
	v_cmp_lt_i32_e64 s[2:3], -1, v12
	v_mul_lo_u32 v6, v6, s19
	s_and_b64 s[76:77], s[76:77], s[2:3]
	v_cmp_lt_i32_e64 s[2:3], -1, v17
	v_add_u32_e32 v14, v0, v6
	v_add_u32_e32 v18, v1, v6
	v_add_u32_e32 v54, v2, v6
	v_add_u32_e32 v6, v9, v4
	s_and_b64 s[78:79], s[78:79], s[2:3]
	v_cmp_lt_i32_e64 s[2:3], -1, v22
	v_mul_lo_u32 v6, v6, s19
	s_and_b64 s[80:81], s[80:81], s[2:3]
	v_cmp_lt_i32_e64 s[2:3], -1, v21
	v_add_u32_e32 v24, v0, v6
	v_add_u32_e32 v56, v1, v6
	;; [unrolled: 1-line block ×4, first 2 shown]
	s_and_b64 s[84:85], s[84:85], s[2:3]
	v_cmp_lt_i32_e64 s[2:3], -1, v10
	v_mul_lo_u32 v6, v6, s19
	v_subrev_u32_e32 v4, s18, v4
	s_and_b64 s[86:87], s[86:87], s[2:3]
	v_cmp_lt_i32_e64 s[2:3], -1, v16
	v_mul_lo_u32 v126, v30, s16
	v_mul_lo_u32 v7, v7, s19
	v_or_b32_e32 v15, v19, v11
	v_add_u32_e32 v28, v0, v6
	v_add_u32_e32 v12, v1, v6
	;; [unrolled: 1-line block ×6, first 2 shown]
	s_and_b64 s[36:37], s[82:83], s[2:3]
	v_cmp_lt_i32_e64 s[2:3], -1, v20
	v_readlane_b32 s82, v127, 0
	v_mul_lo_u32 v48, s23, v126
	v_add_u32_e32 v52, v2, v7
	v_cmp_gt_i32_e32 vcc, s17, v11
	v_mul_lo_u32 v5, v5, s19
	v_mul_lo_u32 v4, v6, s19
	s_and_b64 s[88:89], s[88:89], s[2:3]
	v_cmp_lt_i32_e64 s[2:3], -1, v8
	v_cmp_lt_i32_e64 s[4:5], -1, v15
	v_ashrrev_i32_e32 v51, 31, v50
	v_readlane_b32 s83, v127, 1
	v_ashrrev_i32_e32 v57, 31, v56
	v_ashrrev_i32_e32 v59, 31, v58
	v_mul_lo_u32 v3, v3, s19
	v_add_u32_e32 v44, v0, v7
	v_add_u32_e32 v46, v1, v7
	;; [unrolled: 1-line block ×7, first 2 shown]
	v_ashrrev_i32_e32 v49, 31, v48
	v_lshl_add_u64 v[50:51], v[50:51], 3, s[82:83]
	v_ashrrev_i32_e32 v53, 31, v52
	v_ashrrev_i32_e32 v55, 31, v54
	scratch_store_dwordx2 off, v[56:57], off offset:104 ; 8-byte Folded Spill
	scratch_store_dwordx2 off, v[58:59], off offset:136 ; 8-byte Folded Spill
	s_and_b64 s[82:83], s[84:85], vcc
	s_and_b64 s[84:85], s[86:87], vcc
	;; [unrolled: 1-line block ×3, first 2 shown]
	v_add_u32_e32 v4, v2, v4
	v_add_u32_e32 v56, v0, v3
	s_and_b64 s[2:3], s[90:91], s[2:3]
	v_add_u32_e32 v58, v1, v3
	s_and_b64 s[4:5], s[92:93], s[4:5]
	v_add_u32_e32 v60, v2, v3
	s_mul_i32 s36, s39, s16
	v_lshl_add_u64 v[48:49], v[48:49], 3, s[42:43]
	v_ashrrev_i32_e32 v33, 31, v32
	v_ashrrev_i32_e32 v35, 31, v34
	v_ashrrev_i32_e32 v37, 31, v36
	v_ashrrev_i32_e32 v39, 31, v38
	v_ashrrev_i32_e32 v41, 31, v40
	v_ashrrev_i32_e32 v43, 31, v42
	v_ashrrev_i32_e32 v45, 31, v44
	v_ashrrev_i32_e32 v47, 31, v46
	scratch_store_dwordx2 off, v[52:53], off offset:64 ; 8-byte Folded Spill
	v_ashrrev_i32_e32 v15, 31, v14
	v_ashrrev_i32_e32 v19, 31, v18
	scratch_store_dwordx2 off, v[54:55], off offset:88 ; 8-byte Folded Spill
	v_ashrrev_i32_e32 v25, 31, v24
	v_ashrrev_i32_e32 v27, 31, v26
	;; [unrolled: 1-line block ×4, first 2 shown]
	s_and_b64 s[76:77], s[76:77], vcc
	v_ashrrev_i32_e32 v23, 31, v22
	s_and_b64 s[78:79], s[78:79], vcc
	v_ashrrev_i32_e32 v11, 31, v10
	;; [unrolled: 2-line block ×3, first 2 shown]
	v_ashrrev_i32_e32 v7, 31, v6
	v_ashrrev_i32_e32 v9, 31, v8
	;; [unrolled: 1-line block ×3, first 2 shown]
	s_and_b64 s[88:89], s[88:89], vcc
	v_ashrrev_i32_e32 v57, 31, v56
	s_and_b64 s[2:3], s[2:3], vcc
	v_ashrrev_i32_e32 v59, 31, v58
	;; [unrolled: 2-line block ×3, first 2 shown]
	s_mov_b64 s[90:91], 0
	v_add_u32_e32 v54, s16, v126
	v_mov_b32_e32 v55, v30
	v_mul_lo_u32 v62, s36, v30
	v_mov_b64_e32 v[52:53], 0
	scratch_store_dwordx2 off, v[32:33], off ; 8-byte Folded Spill
	scratch_store_dwordx2 off, v[34:35], off offset:8 ; 8-byte Folded Spill
	scratch_store_dwordx2 off, v[36:37], off offset:16 ; 8-byte Folded Spill
	;; [unrolled: 1-line block ×19, first 2 shown]
	s_branch .LBB12_7
.LBB12_6:                               ;   in Loop: Header=BB12_7 Depth=2
	s_or_b64 exec, exec, s[92:93]
	s_waitcnt vmcnt(26)
	v_fmac_f64_e32 v[52:53], v[64:65], v[66:67]
	s_waitcnt vmcnt(25)
	v_fmac_f64_e32 v[52:53], v[70:71], v[74:75]
	;; [unrolled: 2-line block ×25, first 2 shown]
	v_add_u32_e32 v126, 1, v126
	s_waitcnt vmcnt(1)
	v_fmac_f64_e32 v[52:53], v[40:41], v[44:45]
	s_mov_b64 s[36:37], 0xd8
	v_cmp_ge_i32_e32 vcc, v126, v54
	s_waitcnt vmcnt(0)
	v_fmac_f64_e32 v[52:53], v[46:47], v[42:43]
	v_lshl_add_u64 v[48:49], v[48:49], 0, s[36:37]
	s_or_b64 s[90:91], vcc, s[90:91]
	v_add_u32_e32 v62, s39, v62
	s_andn2_b64 exec, exec, s[90:91]
	s_cbranch_execz .LBB12_2
.LBB12_7:                               ;   Parent Loop BB12_4 Depth=1
                                        ; =>  This Inner Loop Header: Depth=2
	global_load_dwordx2 v[64:65], v[48:49], off
	v_ashrrev_i32_e32 v63, 31, v62
	v_lshl_add_u64 v[68:69], v[62:63], 3, v[50:51]
	v_mov_b64_e32 v[66:67], 0
	s_and_saveexec_b64 s[92:93], s[46:47]
	s_cbranch_execz .LBB12_9
; %bb.8:                                ;   in Loop: Header=BB12_7 Depth=2
	scratch_load_dwordx2 v[0:1], off, off   ; 8-byte Folded Reload
	s_waitcnt vmcnt(0)
	v_lshl_add_u64 v[0:1], v[0:1], 3, v[68:69]
	global_load_dwordx2 v[66:67], v[0:1], off
.LBB12_9:                               ;   in Loop: Header=BB12_7 Depth=2
	s_or_b64 exec, exec, s[92:93]
	global_load_dwordx2 v[70:71], v[48:49], off offset:8
	v_mov_b64_e32 v[72:73], 0
	v_mov_b64_e32 v[74:75], 0
	s_and_saveexec_b64 s[92:93], s[48:49]
	s_cbranch_execz .LBB12_11
; %bb.10:                               ;   in Loop: Header=BB12_7 Depth=2
	scratch_load_dwordx2 v[0:1], off, off offset:8 ; 8-byte Folded Reload
	s_waitcnt vmcnt(0)
	v_lshl_add_u64 v[0:1], v[0:1], 3, v[68:69]
	global_load_dwordx2 v[74:75], v[0:1], off
.LBB12_11:                              ;   in Loop: Header=BB12_7 Depth=2
	s_or_b64 exec, exec, s[92:93]
	global_load_dwordx2 v[76:77], v[48:49], off offset:16
	s_and_saveexec_b64 s[92:93], s[50:51]
	s_cbranch_execz .LBB12_13
; %bb.12:                               ;   in Loop: Header=BB12_7 Depth=2
	scratch_load_dwordx2 v[0:1], off, off offset:16 ; 8-byte Folded Reload
	s_waitcnt vmcnt(0)
	v_lshl_add_u64 v[0:1], v[0:1], 3, v[68:69]
	global_load_dwordx2 v[72:73], v[0:1], off
.LBB12_13:                              ;   in Loop: Header=BB12_7 Depth=2
	s_or_b64 exec, exec, s[92:93]
	global_load_dwordx2 v[78:79], v[48:49], off offset:24
	v_mov_b64_e32 v[80:81], 0
	v_mov_b64_e32 v[82:83], 0
	s_and_saveexec_b64 s[92:93], s[52:53]
	s_cbranch_execz .LBB12_15
; %bb.14:                               ;   in Loop: Header=BB12_7 Depth=2
	scratch_load_dwordx2 v[0:1], off, off offset:24 ; 8-byte Folded Reload
	s_waitcnt vmcnt(0)
	v_lshl_add_u64 v[0:1], v[0:1], 3, v[68:69]
	global_load_dwordx2 v[82:83], v[0:1], off
.LBB12_15:                              ;   in Loop: Header=BB12_7 Depth=2
	s_or_b64 exec, exec, s[92:93]
	global_load_dwordx2 v[84:85], v[48:49], off offset:32
	s_and_saveexec_b64 s[92:93], s[54:55]
	s_cbranch_execz .LBB12_17
; %bb.16:                               ;   in Loop: Header=BB12_7 Depth=2
	scratch_load_dwordx2 v[0:1], off, off offset:32 ; 8-byte Folded Reload
	s_waitcnt vmcnt(0)
	v_lshl_add_u64 v[0:1], v[0:1], 3, v[68:69]
	global_load_dwordx2 v[80:81], v[0:1], off
.LBB12_17:                              ;   in Loop: Header=BB12_7 Depth=2
	;; [unrolled: 22-line block ×11, first 2 shown]
	s_or_b64 exec, exec, s[92:93]
	global_load_dwordx2 v[32:33], v[48:49], off offset:184
	v_mov_b64_e32 v[34:35], 0
	v_mov_b64_e32 v[36:37], 0
	s_and_saveexec_b64 s[92:93], s[86:87]
	s_cbranch_execz .LBB12_55
; %bb.54:                               ;   in Loop: Header=BB12_7 Depth=2
	scratch_load_dwordx2 v[36:37], off, off offset:184 ; 8-byte Folded Reload
	s_waitcnt vmcnt(0)
	v_lshl_add_u64 v[36:37], v[36:37], 3, v[68:69]
	global_load_dwordx2 v[36:37], v[36:37], off
.LBB12_55:                              ;   in Loop: Header=BB12_7 Depth=2
	s_or_b64 exec, exec, s[92:93]
	global_load_dwordx2 v[38:39], v[48:49], off offset:192
	s_and_saveexec_b64 s[92:93], s[88:89]
	s_cbranch_execz .LBB12_57
; %bb.56:                               ;   in Loop: Header=BB12_7 Depth=2
	v_lshl_add_u64 v[34:35], v[56:57], 3, v[68:69]
	global_load_dwordx2 v[34:35], v[34:35], off
.LBB12_57:                              ;   in Loop: Header=BB12_7 Depth=2
	s_or_b64 exec, exec, s[92:93]
	global_load_dwordx2 v[40:41], v[48:49], off offset:200
	v_mov_b64_e32 v[42:43], 0
	v_mov_b64_e32 v[44:45], 0
	s_and_saveexec_b64 s[92:93], s[2:3]
	s_cbranch_execz .LBB12_59
; %bb.58:                               ;   in Loop: Header=BB12_7 Depth=2
	v_lshl_add_u64 v[44:45], v[58:59], 3, v[68:69]
	global_load_dwordx2 v[44:45], v[44:45], off
.LBB12_59:                              ;   in Loop: Header=BB12_7 Depth=2
	s_or_b64 exec, exec, s[92:93]
	global_load_dwordx2 v[46:47], v[48:49], off offset:208
	s_and_saveexec_b64 s[92:93], s[4:5]
	s_cbranch_execz .LBB12_6
; %bb.60:                               ;   in Loop: Header=BB12_7 Depth=2
	v_lshl_add_u64 v[42:43], v[60:61], 3, v[68:69]
	global_load_dwordx2 v[42:43], v[42:43], off
	s_branch .LBB12_6
.LBB12_61:                              ;   in Loop: Header=BB12_4 Depth=1
	v_mov_b64_e32 v[52:53], 0
	s_branch .LBB12_3
.LBB12_62:
	s_endpgm
	.section	.rodata,"a",@progbits
	.p2align	6, 0x0
	.amdhsa_kernel _ZN2at6native12_GLOBAL__N_143conv_depthwise3d_cuda_backward_input_kernelIddLi3ELi3ELi3ELi1ELi1ELi1ELi1ELi1ELi1EEEvN5torch10headeronly6detail27GenericPackedTensorAccessorINS5_14TensorAccessorIN3c108ArrayRefIlEEKT_Lm4ENS4_16DefaultPtrTraitsEiEENS_6detail16IndexBoundsCheckILm5EiEESC_Lm5ESD_iEENS6_INS7_ISA_SB_Lm4ESD_iEESH_SB_Lm5ESD_iEESI_iiiiiiiii
		.amdhsa_group_segment_fixed_size 0
		.amdhsa_private_segment_fixed_size 236
		.amdhsa_kernarg_size 440
		.amdhsa_user_sgpr_count 2
		.amdhsa_user_sgpr_dispatch_ptr 0
		.amdhsa_user_sgpr_queue_ptr 0
		.amdhsa_user_sgpr_kernarg_segment_ptr 1
		.amdhsa_user_sgpr_dispatch_id 0
		.amdhsa_user_sgpr_kernarg_preload_length 0
		.amdhsa_user_sgpr_kernarg_preload_offset 0
		.amdhsa_user_sgpr_private_segment_size 0
		.amdhsa_uses_dynamic_stack 0
		.amdhsa_enable_private_segment 1
		.amdhsa_system_sgpr_workgroup_id_x 1
		.amdhsa_system_sgpr_workgroup_id_y 0
		.amdhsa_system_sgpr_workgroup_id_z 0
		.amdhsa_system_sgpr_workgroup_info 0
		.amdhsa_system_vgpr_workitem_id 0
		.amdhsa_next_free_vgpr 128
		.amdhsa_next_free_sgpr 100
		.amdhsa_accum_offset 128
		.amdhsa_reserve_vcc 1
		.amdhsa_float_round_mode_32 0
		.amdhsa_float_round_mode_16_64 0
		.amdhsa_float_denorm_mode_32 3
		.amdhsa_float_denorm_mode_16_64 3
		.amdhsa_dx10_clamp 1
		.amdhsa_ieee_mode 1
		.amdhsa_fp16_overflow 0
		.amdhsa_tg_split 0
		.amdhsa_exception_fp_ieee_invalid_op 0
		.amdhsa_exception_fp_denorm_src 0
		.amdhsa_exception_fp_ieee_div_zero 0
		.amdhsa_exception_fp_ieee_overflow 0
		.amdhsa_exception_fp_ieee_underflow 0
		.amdhsa_exception_fp_ieee_inexact 0
		.amdhsa_exception_int_div_zero 0
	.end_amdhsa_kernel
	.section	.text._ZN2at6native12_GLOBAL__N_143conv_depthwise3d_cuda_backward_input_kernelIddLi3ELi3ELi3ELi1ELi1ELi1ELi1ELi1ELi1EEEvN5torch10headeronly6detail27GenericPackedTensorAccessorINS5_14TensorAccessorIN3c108ArrayRefIlEEKT_Lm4ENS4_16DefaultPtrTraitsEiEENS_6detail16IndexBoundsCheckILm5EiEESC_Lm5ESD_iEENS6_INS7_ISA_SB_Lm4ESD_iEESH_SB_Lm5ESD_iEESI_iiiiiiiii,"axG",@progbits,_ZN2at6native12_GLOBAL__N_143conv_depthwise3d_cuda_backward_input_kernelIddLi3ELi3ELi3ELi1ELi1ELi1ELi1ELi1ELi1EEEvN5torch10headeronly6detail27GenericPackedTensorAccessorINS5_14TensorAccessorIN3c108ArrayRefIlEEKT_Lm4ENS4_16DefaultPtrTraitsEiEENS_6detail16IndexBoundsCheckILm5EiEESC_Lm5ESD_iEENS6_INS7_ISA_SB_Lm4ESD_iEESH_SB_Lm5ESD_iEESI_iiiiiiiii,comdat
.Lfunc_end12:
	.size	_ZN2at6native12_GLOBAL__N_143conv_depthwise3d_cuda_backward_input_kernelIddLi3ELi3ELi3ELi1ELi1ELi1ELi1ELi1ELi1EEEvN5torch10headeronly6detail27GenericPackedTensorAccessorINS5_14TensorAccessorIN3c108ArrayRefIlEEKT_Lm4ENS4_16DefaultPtrTraitsEiEENS_6detail16IndexBoundsCheckILm5EiEESC_Lm5ESD_iEENS6_INS7_ISA_SB_Lm4ESD_iEESH_SB_Lm5ESD_iEESI_iiiiiiiii, .Lfunc_end12-_ZN2at6native12_GLOBAL__N_143conv_depthwise3d_cuda_backward_input_kernelIddLi3ELi3ELi3ELi1ELi1ELi1ELi1ELi1ELi1EEEvN5torch10headeronly6detail27GenericPackedTensorAccessorINS5_14TensorAccessorIN3c108ArrayRefIlEEKT_Lm4ENS4_16DefaultPtrTraitsEiEENS_6detail16IndexBoundsCheckILm5EiEESC_Lm5ESD_iEENS6_INS7_ISA_SB_Lm4ESD_iEESH_SB_Lm5ESD_iEESI_iiiiiiiii
                                        ; -- End function
	.set _ZN2at6native12_GLOBAL__N_143conv_depthwise3d_cuda_backward_input_kernelIddLi3ELi3ELi3ELi1ELi1ELi1ELi1ELi1ELi1EEEvN5torch10headeronly6detail27GenericPackedTensorAccessorINS5_14TensorAccessorIN3c108ArrayRefIlEEKT_Lm4ENS4_16DefaultPtrTraitsEiEENS_6detail16IndexBoundsCheckILm5EiEESC_Lm5ESD_iEENS6_INS7_ISA_SB_Lm4ESD_iEESH_SB_Lm5ESD_iEESI_iiiiiiiii.num_vgpr, 128
	.set _ZN2at6native12_GLOBAL__N_143conv_depthwise3d_cuda_backward_input_kernelIddLi3ELi3ELi3ELi1ELi1ELi1ELi1ELi1ELi1EEEvN5torch10headeronly6detail27GenericPackedTensorAccessorINS5_14TensorAccessorIN3c108ArrayRefIlEEKT_Lm4ENS4_16DefaultPtrTraitsEiEENS_6detail16IndexBoundsCheckILm5EiEESC_Lm5ESD_iEENS6_INS7_ISA_SB_Lm4ESD_iEESH_SB_Lm5ESD_iEESI_iiiiiiiii.num_agpr, 0
	.set _ZN2at6native12_GLOBAL__N_143conv_depthwise3d_cuda_backward_input_kernelIddLi3ELi3ELi3ELi1ELi1ELi1ELi1ELi1ELi1EEEvN5torch10headeronly6detail27GenericPackedTensorAccessorINS5_14TensorAccessorIN3c108ArrayRefIlEEKT_Lm4ENS4_16DefaultPtrTraitsEiEENS_6detail16IndexBoundsCheckILm5EiEESC_Lm5ESD_iEENS6_INS7_ISA_SB_Lm4ESD_iEESH_SB_Lm5ESD_iEESI_iiiiiiiii.numbered_sgpr, 100
	.set _ZN2at6native12_GLOBAL__N_143conv_depthwise3d_cuda_backward_input_kernelIddLi3ELi3ELi3ELi1ELi1ELi1ELi1ELi1ELi1EEEvN5torch10headeronly6detail27GenericPackedTensorAccessorINS5_14TensorAccessorIN3c108ArrayRefIlEEKT_Lm4ENS4_16DefaultPtrTraitsEiEENS_6detail16IndexBoundsCheckILm5EiEESC_Lm5ESD_iEENS6_INS7_ISA_SB_Lm4ESD_iEESH_SB_Lm5ESD_iEESI_iiiiiiiii.num_named_barrier, 0
	.set _ZN2at6native12_GLOBAL__N_143conv_depthwise3d_cuda_backward_input_kernelIddLi3ELi3ELi3ELi1ELi1ELi1ELi1ELi1ELi1EEEvN5torch10headeronly6detail27GenericPackedTensorAccessorINS5_14TensorAccessorIN3c108ArrayRefIlEEKT_Lm4ENS4_16DefaultPtrTraitsEiEENS_6detail16IndexBoundsCheckILm5EiEESC_Lm5ESD_iEENS6_INS7_ISA_SB_Lm4ESD_iEESH_SB_Lm5ESD_iEESI_iiiiiiiii.private_seg_size, 236
	.set _ZN2at6native12_GLOBAL__N_143conv_depthwise3d_cuda_backward_input_kernelIddLi3ELi3ELi3ELi1ELi1ELi1ELi1ELi1ELi1EEEvN5torch10headeronly6detail27GenericPackedTensorAccessorINS5_14TensorAccessorIN3c108ArrayRefIlEEKT_Lm4ENS4_16DefaultPtrTraitsEiEENS_6detail16IndexBoundsCheckILm5EiEESC_Lm5ESD_iEENS6_INS7_ISA_SB_Lm4ESD_iEESH_SB_Lm5ESD_iEESI_iiiiiiiii.uses_vcc, 1
	.set _ZN2at6native12_GLOBAL__N_143conv_depthwise3d_cuda_backward_input_kernelIddLi3ELi3ELi3ELi1ELi1ELi1ELi1ELi1ELi1EEEvN5torch10headeronly6detail27GenericPackedTensorAccessorINS5_14TensorAccessorIN3c108ArrayRefIlEEKT_Lm4ENS4_16DefaultPtrTraitsEiEENS_6detail16IndexBoundsCheckILm5EiEESC_Lm5ESD_iEENS6_INS7_ISA_SB_Lm4ESD_iEESH_SB_Lm5ESD_iEESI_iiiiiiiii.uses_flat_scratch, 0
	.set _ZN2at6native12_GLOBAL__N_143conv_depthwise3d_cuda_backward_input_kernelIddLi3ELi3ELi3ELi1ELi1ELi1ELi1ELi1ELi1EEEvN5torch10headeronly6detail27GenericPackedTensorAccessorINS5_14TensorAccessorIN3c108ArrayRefIlEEKT_Lm4ENS4_16DefaultPtrTraitsEiEENS_6detail16IndexBoundsCheckILm5EiEESC_Lm5ESD_iEENS6_INS7_ISA_SB_Lm4ESD_iEESH_SB_Lm5ESD_iEESI_iiiiiiiii.has_dyn_sized_stack, 0
	.set _ZN2at6native12_GLOBAL__N_143conv_depthwise3d_cuda_backward_input_kernelIddLi3ELi3ELi3ELi1ELi1ELi1ELi1ELi1ELi1EEEvN5torch10headeronly6detail27GenericPackedTensorAccessorINS5_14TensorAccessorIN3c108ArrayRefIlEEKT_Lm4ENS4_16DefaultPtrTraitsEiEENS_6detail16IndexBoundsCheckILm5EiEESC_Lm5ESD_iEENS6_INS7_ISA_SB_Lm4ESD_iEESH_SB_Lm5ESD_iEESI_iiiiiiiii.has_recursion, 0
	.set _ZN2at6native12_GLOBAL__N_143conv_depthwise3d_cuda_backward_input_kernelIddLi3ELi3ELi3ELi1ELi1ELi1ELi1ELi1ELi1EEEvN5torch10headeronly6detail27GenericPackedTensorAccessorINS5_14TensorAccessorIN3c108ArrayRefIlEEKT_Lm4ENS4_16DefaultPtrTraitsEiEENS_6detail16IndexBoundsCheckILm5EiEESC_Lm5ESD_iEENS6_INS7_ISA_SB_Lm4ESD_iEESH_SB_Lm5ESD_iEESI_iiiiiiiii.has_indirect_call, 0
	.section	.AMDGPU.csdata,"",@progbits
; Kernel info:
; codeLenInByte = 4200
; TotalNumSgprs: 106
; NumVgprs: 128
; NumAgprs: 0
; TotalNumVgprs: 128
; ScratchSize: 236
; MemoryBound: 0
; FloatMode: 240
; IeeeMode: 1
; LDSByteSize: 0 bytes/workgroup (compile time only)
; SGPRBlocks: 13
; VGPRBlocks: 15
; NumSGPRsForWavesPerEU: 106
; NumVGPRsForWavesPerEU: 128
; AccumOffset: 128
; Occupancy: 4
; WaveLimiterHint : 0
; COMPUTE_PGM_RSRC2:SCRATCH_EN: 1
; COMPUTE_PGM_RSRC2:USER_SGPR: 2
; COMPUTE_PGM_RSRC2:TRAP_HANDLER: 0
; COMPUTE_PGM_RSRC2:TGID_X_EN: 1
; COMPUTE_PGM_RSRC2:TGID_Y_EN: 0
; COMPUTE_PGM_RSRC2:TGID_Z_EN: 0
; COMPUTE_PGM_RSRC2:TIDIG_COMP_CNT: 0
; COMPUTE_PGM_RSRC3_GFX90A:ACCUM_OFFSET: 31
; COMPUTE_PGM_RSRC3_GFX90A:TG_SPLIT: 0
	.section	.text._ZN2at6native12_GLOBAL__N_143conv_depthwise3d_cuda_backward_input_kernelIddLi3ELi3ELi3ELi1ELi1ELi1ELin1ELin1ELin1EEEvN5torch10headeronly6detail27GenericPackedTensorAccessorINS5_14TensorAccessorIN3c108ArrayRefIlEEKT_Lm4ENS4_16DefaultPtrTraitsEiEENS_6detail16IndexBoundsCheckILm5EiEESC_Lm5ESD_iEENS6_INS7_ISA_SB_Lm4ESD_iEESH_SB_Lm5ESD_iEESI_iiiiiiiii,"axG",@progbits,_ZN2at6native12_GLOBAL__N_143conv_depthwise3d_cuda_backward_input_kernelIddLi3ELi3ELi3ELi1ELi1ELi1ELin1ELin1ELin1EEEvN5torch10headeronly6detail27GenericPackedTensorAccessorINS5_14TensorAccessorIN3c108ArrayRefIlEEKT_Lm4ENS4_16DefaultPtrTraitsEiEENS_6detail16IndexBoundsCheckILm5EiEESC_Lm5ESD_iEENS6_INS7_ISA_SB_Lm4ESD_iEESH_SB_Lm5ESD_iEESI_iiiiiiiii,comdat
	.globl	_ZN2at6native12_GLOBAL__N_143conv_depthwise3d_cuda_backward_input_kernelIddLi3ELi3ELi3ELi1ELi1ELi1ELin1ELin1ELin1EEEvN5torch10headeronly6detail27GenericPackedTensorAccessorINS5_14TensorAccessorIN3c108ArrayRefIlEEKT_Lm4ENS4_16DefaultPtrTraitsEiEENS_6detail16IndexBoundsCheckILm5EiEESC_Lm5ESD_iEENS6_INS7_ISA_SB_Lm4ESD_iEESH_SB_Lm5ESD_iEESI_iiiiiiiii ; -- Begin function _ZN2at6native12_GLOBAL__N_143conv_depthwise3d_cuda_backward_input_kernelIddLi3ELi3ELi3ELi1ELi1ELi1ELin1ELin1ELin1EEEvN5torch10headeronly6detail27GenericPackedTensorAccessorINS5_14TensorAccessorIN3c108ArrayRefIlEEKT_Lm4ENS4_16DefaultPtrTraitsEiEENS_6detail16IndexBoundsCheckILm5EiEESC_Lm5ESD_iEENS6_INS7_ISA_SB_Lm4ESD_iEESH_SB_Lm5ESD_iEESI_iiiiiiiii
	.p2align	8
	.type	_ZN2at6native12_GLOBAL__N_143conv_depthwise3d_cuda_backward_input_kernelIddLi3ELi3ELi3ELi1ELi1ELi1ELin1ELin1ELin1EEEvN5torch10headeronly6detail27GenericPackedTensorAccessorINS5_14TensorAccessorIN3c108ArrayRefIlEEKT_Lm4ENS4_16DefaultPtrTraitsEiEENS_6detail16IndexBoundsCheckILm5EiEESC_Lm5ESD_iEENS6_INS7_ISA_SB_Lm4ESD_iEESH_SB_Lm5ESD_iEESI_iiiiiiiii,@function
_ZN2at6native12_GLOBAL__N_143conv_depthwise3d_cuda_backward_input_kernelIddLi3ELi3ELi3ELi1ELi1ELi1ELin1ELin1ELin1EEEvN5torch10headeronly6detail27GenericPackedTensorAccessorINS5_14TensorAccessorIN3c108ArrayRefIlEEKT_Lm4ENS4_16DefaultPtrTraitsEiEENS_6detail16IndexBoundsCheckILm5EiEESC_Lm5ESD_iEENS6_INS7_ISA_SB_Lm4ESD_iEESH_SB_Lm5ESD_iEESI_iiiiiiiii: ; @_ZN2at6native12_GLOBAL__N_143conv_depthwise3d_cuda_backward_input_kernelIddLi3ELi3ELi3ELi1ELi1ELi1ELin1ELin1ELin1EEEvN5torch10headeronly6detail27GenericPackedTensorAccessorINS5_14TensorAccessorIN3c108ArrayRefIlEEKT_Lm4ENS4_16DefaultPtrTraitsEiEENS_6detail16IndexBoundsCheckILm5EiEESC_Lm5ESD_iEENS6_INS7_ISA_SB_Lm4ESD_iEESH_SB_Lm5ESD_iEESI_iiiiiiiii
; %bb.0:
	s_load_dwordx4 s[8:11], s[0:1], 0x38
	s_load_dwordx2 s[16:17], s[0:1], 0x48
	s_load_dword s4, s[0:1], 0xc4
                                        ; implicit-def: $vgpr126 : SGPR spill to VGPR lane
	v_mov_b32_e32 v3, s2
	v_mov_b32_e32 v1, 0
	s_waitcnt lgkmcnt(0)
	s_abs_i32 s3, s9
	v_cvt_f32_u32_e32 v2, s3
	v_writelane_b32 v126, s3, 0
	s_mov_b64 s[6:7], s[10:11]
	s_mov_b32 s5, s9
	v_rcp_iflag_f32_e32 v2, v2
	v_writelane_b32 v126, s4, 1
	s_mul_i32 s8, s17, s8
	s_add_u32 s2, s0, 0xb8
	v_mul_f32_e32 v2, 0x4f7ffffe, v2
	v_writelane_b32 v126, s5, 2
	v_cvt_u32_f32_e32 v2, v2
	v_writelane_b32 v126, s6, 3
	v_writelane_b32 v126, s7, 4
	s_addc_u32 s3, s1, 0
	s_and_b32 s4, s4, 0xffff
	s_ashr_i32 s9, s8, 31
	v_mad_u64_u32 v[4:5], s[6:7], s4, v3, v[0:1]
	v_writelane_b32 v126, s8, 5
	v_readfirstlane_b32 s5, v2
	s_nop 0
	v_writelane_b32 v126, s9, 6
	v_cmp_gt_i64_e32 vcc, s[8:9], v[4:5]
	s_and_saveexec_b64 s[6:7], vcc
	s_cbranch_execz .LBB13_63
; %bb.1:
	s_load_dwordx2 s[6:7], s[0:1], 0x0
	s_load_dwordx4 s[24:27], s[0:1], 0x50
	s_load_dwordx4 s[8:11], s[0:1], 0xc
	;; [unrolled: 1-line block ×3, first 2 shown]
	s_load_dwordx2 s[18:19], s[0:1], 0xa0
                                        ; kill: killed $sgpr0 killed $sgpr1
	s_waitcnt lgkmcnt(0)
	v_writelane_b32 v126, s6, 7
	s_ashr_i32 s12, s13, 31
	s_nop 0
	v_writelane_b32 v126, s7, 8
	s_ashr_i32 s6, s8, 31
	v_writelane_b32 v126, s8, 9
	s_abs_i32 s7, s8
	s_xor_b32 s6, s6, s12
	v_writelane_b32 v126, s9, 10
	v_writelane_b32 v126, s10, 11
	;; [unrolled: 1-line block ×3, first 2 shown]
	s_mov_b32 s13, 0
	v_readlane_b32 s11, v126, 0
	s_sub_i32 s8, 0, s11
	s_mul_i32 s9, s8, s5
	s_mul_hi_u32 s9, s5, s9
	s_add_i32 s5, s5, s9
	s_mul_hi_u32 s5, s7, s5
	s_mul_i32 s9, s5, s11
	s_sub_i32 s7, s7, s9
	s_add_i32 s9, s5, 1
	s_sub_i32 s10, s7, s11
	s_cmp_ge_u32 s7, s11
	s_cselect_b32 s5, s9, s5
	s_cselect_b32 s7, s10, s7
	s_add_i32 s9, s5, 1
	s_cmp_ge_u32 s7, s11
	s_cselect_b32 s5, s9, s5
	s_xor_b32 s5, s5, s6
	s_sub_i32 s6, s5, s6
	s_load_dword s5, s[2:3], 0x0
	s_load_dwordx4 s[20:23], s[0:1], 0x90
	s_load_dword s7, s[0:1], 0x7c
	s_load_dwordx2 s[10:11], s[0:1], 0x1c
	v_writelane_b32 v126, s18, 13
	s_cmp_gt_i32 s6, 0
	s_cselect_b64 s[2:3], -1, 0
	v_writelane_b32 v126, s19, 14
	v_writelane_b32 v126, s12, 15
	;; [unrolled: 1-line block ×3, first 2 shown]
	s_waitcnt lgkmcnt(0)
	v_writelane_b32 v126, s7, 17
	v_writelane_b32 v126, s10, 18
	s_abs_i32 s6, s16
	v_cvt_f32_u32_e32 v0, s6
	v_writelane_b32 v126, s11, 19
	s_load_dwordx2 s[10:11], s[0:1], 0x30
	s_mul_i32 s12, s5, s4
	v_rcp_iflag_f32_e32 v0, v0
	s_abs_i32 s4, s14
	s_abs_i32 s33, s22
	s_waitcnt lgkmcnt(0)
	v_writelane_b32 v126, s10, 20
	v_mul_f32_e32 v0, 0x4f7ffffe, v0
	v_cvt_u32_f32_e32 v0, v0
	v_writelane_b32 v126, s11, 21
	s_load_dwordx2 s[10:11], s[0:1], 0x60
	s_ashr_i32 s0, s16, 31
	s_abs_i32 s1, s15
	v_cvt_f32_u32_e32 v1, s1
	s_waitcnt lgkmcnt(0)
	v_writelane_b32 v126, s10, 22
	v_rcp_iflag_f32_e32 v1, v1
	s_nop 0
	v_writelane_b32 v126, s11, 23
	v_writelane_b32 v126, s24, 24
	v_mul_f32_e32 v1, 0x4f7ffffe, v1
	s_nop 0
	v_writelane_b32 v126, s25, 25
	v_writelane_b32 v126, s26, 26
	;; [unrolled: 1-line block ×4, first 2 shown]
	v_cvt_u32_f32_e32 v1, v1
	s_nop 0
	v_writelane_b32 v126, s13, 29
	v_writelane_b32 v126, s0, 30
	s_sub_i32 s0, 0, s6
	v_mul_lo_u32 v3, s0, v0
	v_mul_hi_u32 v3, v0, v3
	v_add_u32_e32 v0, v0, v3
	scratch_store_dword off, v0, off offset:220 ; 4-byte Folded Spill
	v_cvt_f32_u32_e32 v0, s4
	v_writelane_b32 v126, s6, 31
	s_ashr_i32 s0, s15, 31
	v_writelane_b32 v126, s0, 32
	v_rcp_iflag_f32_e32 v0, v0
	s_sub_i32 s0, 0, s1
	v_mul_lo_u32 v3, s0, v1
	v_writelane_b32 v126, s1, 33
	v_mul_f32_e32 v0, 0x4f7ffffe, v0
	v_cvt_u32_f32_e32 v0, v0
	v_mul_hi_u32 v3, v1, v3
	s_ashr_i32 s0, s14, 31
	v_add_u32_e32 v1, v1, v3
	v_writelane_b32 v126, s0, 34
	s_sub_i32 s0, 0, s4
	scratch_store_dword off, v1, off offset:224 ; 4-byte Folded Spill
	v_mul_lo_u32 v1, s0, v0
	s_abs_i32 s0, s20
	v_cvt_f32_u32_e32 v3, s0
	v_mul_hi_u32 v1, v0, v1
	v_add_u32_e32 v0, v0, v1
	scratch_store_dword off, v0, off offset:228 ; 4-byte Folded Spill
	v_rcp_iflag_f32_e32 v1, v3
	v_mul_lo_u32 v0, s8, v2
	v_mul_hi_u32 v0, v2, v0
	v_add_u32_e32 v0, v2, v0
	scratch_store_dword off, v0, off offset:232 ; 4-byte Folded Spill
	v_mul_f32_e32 v0, 0x4f7ffffe, v1
	v_cvt_u32_f32_e32 v0, v0
	v_writelane_b32 v126, s4, 35
	s_ashr_i32 s1, s20, 31
	v_writelane_b32 v126, s1, 36
	s_abs_i32 s1, s21
	v_writelane_b32 v126, s0, 37
	s_sub_i32 s0, 0, s0
	v_cvt_f32_u32_e32 v1, s1
	v_mul_lo_u32 v2, s0, v0
	v_mul_hi_u32 v2, v0, v2
	v_add_u32_e32 v0, v0, v2
	scratch_store_dword off, v0, off offset:236 ; 4-byte Folded Spill
	v_cvt_f32_u32_e32 v0, s33
	v_rcp_iflag_f32_e32 v1, v1
	s_ashr_i32 s0, s21, 31
	v_writelane_b32 v126, s0, 38
	v_rcp_iflag_f32_e32 v0, v0
	v_mul_f32_e32 v1, 0x4f7ffffe, v1
	v_cvt_u32_f32_e32 v1, v1
	v_writelane_b32 v126, s1, 39
	v_mul_f32_e32 v0, 0x4f7ffffe, v0
	v_writelane_b32 v126, s20, 40
	s_sub_i32 s0, 0, s1
	v_cvt_u32_f32_e32 v0, v0
	v_writelane_b32 v126, s21, 41
	v_mul_lo_u32 v2, s0, v1
	v_writelane_b32 v126, s22, 42
	v_mul_hi_u32 v2, v1, v2
	v_writelane_b32 v126, s23, 43
	s_ashr_i32 s0, s22, 31
	v_add_u32_e32 v1, v1, v2
	v_writelane_b32 v126, s0, 44
	s_sub_i32 s0, 0, s33
	scratch_store_dword off, v1, off offset:240 ; 4-byte Folded Spill
	v_mul_lo_u32 v1, s0, v0
	v_mul_hi_u32 v1, v0, v1
	v_add_u32_e32 v0, v0, v1
	scratch_store_dword off, v0, off offset:244 ; 4-byte Folded Spill
	v_cndmask_b32_e64 v0, 0, 1, s[2:3]
	v_cmp_ne_u32_e64 s[0:1], 1, v0
	s_mov_b64 s[4:5], 0
	s_nop 0
	v_writelane_b32 v126, s0, 45
	s_nop 1
	v_writelane_b32 v126, s1, 46
	v_writelane_b32 v126, s16, 47
	s_nop 1
	v_writelane_b32 v126, s17, 48
.LBB13_2:                               ; =>This Loop Header: Depth=1
                                        ;     Child Loop BB13_5 Depth 2
	scratch_load_dword v2, off, off offset:220 ; 4-byte Folded Reload
	v_writelane_b32 v126, s4, 49
	v_sub_u32_e32 v1, 0, v4
	v_ashrrev_i32_e32 v0, 31, v4
	v_writelane_b32 v126, s5, 50
	v_max_i32_e32 v1, v4, v1
	v_readlane_b32 s0, v126, 30
	scratch_store_dwordx2 off, v[4:5], off offset:192 ; 8-byte Folded Spill
	s_waitcnt vmcnt(1)
	v_mul_hi_u32 v2, v1, v2
	v_xor_b32_e32 v0, s0, v0
	v_readlane_b32 s0, v126, 31
	s_nop 1
	v_mul_lo_u32 v3, v2, s0
	v_sub_u32_e32 v1, v1, v3
	v_add_u32_e32 v3, 1, v2
	v_cmp_le_u32_e32 vcc, s0, v1
	s_nop 1
	v_cndmask_b32_e32 v2, v2, v3, vcc
	v_subrev_u32_e32 v3, s0, v1
	v_cndmask_b32_e32 v1, v1, v3, vcc
	v_add_u32_e32 v3, 1, v2
	v_cmp_le_u32_e32 vcc, s0, v1
	v_readlane_b32 s0, v126, 32
	s_nop 0
	v_cndmask_b32_e32 v1, v2, v3, vcc
	scratch_load_dword v3, off, off offset:224 ; 4-byte Folded Reload
	v_xor_b32_e32 v1, v1, v0
	v_sub_u32_e32 v0, v1, v0
	v_mul_lo_u32 v1, v0, s16
	v_sub_u32_e32 v2, 0, v0
	v_sub_u32_e32 v5, v4, v1
	v_ashrrev_i32_e32 v1, 31, v0
	v_max_i32_e32 v2, v0, v2
	v_xor_b32_e32 v1, s0, v1
	v_readlane_b32 s0, v126, 33
	s_waitcnt vmcnt(0)
	v_mul_hi_u32 v3, v2, v3
	v_mul_lo_u32 v4, v3, s0
	v_sub_u32_e32 v2, v2, v4
	v_add_u32_e32 v4, 1, v3
	v_cmp_le_u32_e32 vcc, s0, v2
	s_nop 1
	v_cndmask_b32_e32 v3, v3, v4, vcc
	v_subrev_u32_e32 v4, s0, v2
	v_cndmask_b32_e32 v2, v2, v4, vcc
	v_add_u32_e32 v4, 1, v3
	v_cmp_le_u32_e32 vcc, s0, v2
	v_readlane_b32 s0, v126, 1
	v_readlane_b32 s3, v126, 4
	v_cndmask_b32_e32 v2, v3, v4, vcc
	scratch_load_dword v3, off, off offset:228 ; 4-byte Folded Reload
	v_xor_b32_e32 v2, v2, v1
	v_sub_u32_e32 v1, v2, v1
	v_mul_lo_u32 v2, v1, s3
	v_sub_u32_e32 v6, v0, v2
	v_sub_u32_e32 v2, 0, v1
	v_ashrrev_i32_e32 v0, 31, v1
	v_readlane_b32 s0, v126, 34
	v_max_i32_e32 v2, v1, v2
	v_readlane_b32 s2, v126, 3
	v_xor_b32_e32 v0, s0, v0
	v_readlane_b32 s0, v126, 35
	v_readlane_b32 s1, v126, 2
	s_waitcnt vmcnt(0)
	v_mul_hi_u32 v3, v2, v3
	v_mul_lo_u32 v4, v3, s0
	v_sub_u32_e32 v2, v2, v4
	v_add_u32_e32 v4, 1, v3
	v_cmp_le_u32_e32 vcc, s0, v2
	s_nop 1
	v_cndmask_b32_e32 v3, v3, v4, vcc
	v_subrev_u32_e32 v4, s0, v2
	v_cndmask_b32_e32 v2, v2, v4, vcc
	v_add_u32_e32 v4, 1, v3
	v_cmp_le_u32_e32 vcc, s0, v2
	v_readlane_b32 s0, v126, 15
	s_nop 0
	v_cndmask_b32_e32 v2, v3, v4, vcc
	scratch_load_dword v3, off, off offset:232 ; 4-byte Folded Reload
	v_xor_b32_e32 v2, v2, v0
	v_sub_u32_e32 v0, v2, v0
	v_mul_lo_u32 v2, v0, s2
	v_sub_u32_e32 v7, v1, v2
	v_sub_u32_e32 v2, 0, v0
	v_ashrrev_i32_e32 v1, 31, v0
	v_max_i32_e32 v2, v0, v2
	v_xor_b32_e32 v1, s0, v1
	v_readlane_b32 s0, v126, 0
	s_waitcnt vmcnt(0)
	v_mul_hi_u32 v3, v2, v3
	v_mul_lo_u32 v4, v3, s0
	v_sub_u32_e32 v2, v2, v4
	v_add_u32_e32 v4, 1, v3
	v_cmp_le_u32_e32 vcc, s0, v2
	s_nop 1
	v_cndmask_b32_e32 v3, v3, v4, vcc
	v_subrev_u32_e32 v4, s0, v2
	v_cndmask_b32_e32 v2, v2, v4, vcc
	v_add_u32_e32 v4, 1, v3
	v_cmp_le_u32_e32 vcc, s0, v2
	s_nop 1
	v_cndmask_b32_e32 v2, v3, v4, vcc
	v_xor_b32_e32 v2, v2, v1
	v_sub_u32_e32 v38, v2, v1
	v_mul_lo_u32 v1, v38, s1
	v_readlane_b32 s0, v126, 45
	v_readlane_b32 s1, v126, 46
	s_and_b64 vcc, exec, s[0:1]
	v_sub_u32_e32 v37, v0, v1
	s_cbranch_vccnz .LBB13_60
; %bb.3:                                ;   in Loop: Header=BB13_2 Depth=1
	scratch_load_dword v15, off, off offset:236 ; 4-byte Folded Reload
	scratch_load_dword v11, off, off offset:240 ; 4-byte Folded Reload
	;; [unrolled: 1-line block ×3, first 2 shown]
	v_readlane_b32 s44, v126, 40
	v_readlane_b32 s47, v126, 43
	;; [unrolled: 1-line block ×4, first 2 shown]
	v_add_u32_e32 v3, s47, v7
	v_sub_u32_e32 v1, 0, v3
	v_max_i32_e32 v1, v3, v1
	v_add_u32_e32 v4, s0, v6
	scratch_store_dword off, v5, off offset:200 ; 4-byte Folded Spill
	v_add_u32_e32 v2, s1, v5
	v_readlane_b32 s0, v126, 37
	scratch_store_dword off, v6, off offset:204 ; 4-byte Folded Spill
	v_ashrrev_i32_e32 v0, 31, v3
	v_readlane_b32 s26, v126, 36
	v_readlane_b32 s1, v126, 39
	scratch_store_dword off, v7, off offset:208 ; 4-byte Folded Spill
	v_xor_b32_e32 v0, s26, v0
	v_readlane_b32 s6, v126, 38
	v_readlane_b32 s10, v126, 44
	v_add_u32_e32 v13, -1, v4
	v_add_u32_e32 v14, -2, v3
	;; [unrolled: 1-line block ×3, first 2 shown]
	v_readlane_b32 s84, v126, 9
	v_readlane_b32 s86, v126, 11
	;; [unrolled: 1-line block ×3, first 2 shown]
	v_sub_u32_e32 v21, 2, v2
	v_readlane_b32 s85, v126, 10
	v_readlane_b32 s45, v126, 41
	;; [unrolled: 1-line block ×3, first 2 shown]
                                        ; implicit-def: $vgpr127 : SGPR spill to VGPR lane
	v_mov_b64_e32 v[62:63], 0
	scratch_store_dword off, v38, off offset:216 ; 4-byte Folded Spill
	scratch_store_dword off, v37, off offset:212 ; 4-byte Folded Spill
	s_waitcnt vmcnt(7)
	v_mul_hi_u32 v5, v1, v15
	v_mul_lo_u32 v6, v5, s0
	v_sub_u32_e32 v1, v1, v6
	v_add_u32_e32 v6, 1, v5
	v_cmp_le_u32_e32 vcc, s0, v1
	s_nop 1
	v_cndmask_b32_e32 v5, v5, v6, vcc
	v_subrev_u32_e32 v6, s0, v1
	v_cndmask_b32_e32 v1, v1, v6, vcc
	v_add_u32_e32 v6, 1, v5
	v_cmp_le_u32_e32 vcc, s0, v1
	s_nop 1
	v_cndmask_b32_e32 v1, v5, v6, vcc
	v_xor_b32_e32 v1, v1, v0
	v_sub_u32_e32 v6, v1, v0
	v_sub_u32_e32 v1, 0, v4
	v_max_i32_e32 v1, v4, v1
	s_waitcnt vmcnt(6)
	v_mul_hi_u32 v5, v1, v11
	v_mul_lo_u32 v7, v5, s1
	v_sub_u32_e32 v1, v1, v7
	v_add_u32_e32 v7, 1, v5
	v_cmp_le_u32_e64 s[2:3], s1, v1
	v_ashrrev_i32_e32 v0, 31, v4
	v_xor_b32_e32 v0, s6, v0
	v_cndmask_b32_e64 v5, v5, v7, s[2:3]
	v_subrev_u32_e32 v7, s1, v1
	v_cndmask_b32_e64 v1, v1, v7, s[2:3]
	v_add_u32_e32 v7, 1, v5
	v_cmp_le_u32_e64 s[2:3], s1, v1
	v_cmp_gt_i32_e32 vcc, s85, v6
	s_nop 0
	v_cndmask_b32_e64 v1, v5, v7, s[2:3]
	v_sub_u32_e32 v5, 0, v2
	v_max_i32_e32 v5, v2, v5
	s_waitcnt vmcnt(5)
	v_mul_hi_u32 v7, v5, v27
	v_mul_lo_u32 v8, v7, s33
	v_sub_u32_e32 v5, v5, v8
	v_add_u32_e32 v8, 1, v7
	v_cmp_le_u32_e64 s[4:5], s33, v5
	v_xor_b32_e32 v1, v1, v0
	v_sub_u32_e32 v0, v1, v0
	v_cndmask_b32_e64 v7, v7, v8, s[4:5]
	v_subrev_u32_e32 v8, s33, v5
	v_cndmask_b32_e64 v5, v5, v8, s[4:5]
	v_ashrrev_i32_e32 v1, 31, v2
	v_add_u32_e32 v8, 1, v7
	v_cmp_le_u32_e64 s[4:5], s33, v5
	v_xor_b32_e32 v1, s10, v1
	v_cmp_gt_i32_e64 s[2:3], s86, v0
	v_cndmask_b32_e64 v5, v7, v8, s[4:5]
	v_xor_b32_e32 v5, v5, v1
	v_sub_u32_e32 v1, v5, v1
	v_add_u32_e32 v5, -2, v4
	v_sub_u32_e32 v8, 2, v4
	v_max_i32_e32 v8, v5, v8
	v_mul_hi_u32 v9, v8, v11
	v_mul_lo_u32 v10, v9, s1
	v_sub_u32_e32 v8, v8, v10
	v_add_u32_e32 v10, 1, v9
	v_cmp_le_u32_e64 s[4:5], s1, v8
	v_ashrrev_i32_e32 v7, 31, v5
	v_xor_b32_e32 v7, s6, v7
	v_cndmask_b32_e64 v9, v9, v10, s[4:5]
	v_subrev_u32_e32 v10, s1, v8
	v_cndmask_b32_e64 v8, v8, v10, s[4:5]
	v_add_u32_e32 v10, 1, v9
	v_cmp_le_u32_e64 s[4:5], s1, v8
	v_or_b32_e32 v20, v1, v0
	s_nop 0
	v_cndmask_b32_e64 v8, v9, v10, s[4:5]
	v_sub_u32_e32 v9, 1, v4
	v_max_i32_e32 v9, v13, v9
	v_mul_hi_u32 v10, v9, v11
	v_mul_lo_u32 v11, v10, s1
	v_sub_u32_e32 v9, v9, v11
	v_add_u32_e32 v11, 1, v10
	v_cmp_le_u32_e64 s[4:5], s1, v9
	v_xor_b32_e32 v8, v8, v7
	v_sub_u32_e32 v7, v8, v7
	v_cndmask_b32_e64 v10, v10, v11, s[4:5]
	v_subrev_u32_e32 v11, s1, v9
	v_cndmask_b32_e64 v9, v9, v11, s[4:5]
	v_ashrrev_i32_e32 v8, 31, v13
	v_add_u32_e32 v11, 1, v10
	v_cmp_le_u32_e64 s[4:5], s1, v9
	v_xor_b32_e32 v8, s6, v8
	v_or_b32_e32 v12, v1, v7
	v_cndmask_b32_e64 v9, v10, v11, s[4:5]
	v_xor_b32_e32 v9, v9, v8
	v_sub_u32_e32 v8, v9, v8
	v_sub_u32_e32 v9, 2, v3
	v_max_i32_e32 v9, v14, v9
	v_mul_hi_u32 v10, v9, v15
	v_mul_lo_u32 v11, v10, s0
	v_sub_u32_e32 v9, v9, v11
	v_add_u32_e32 v11, 1, v10
	v_cmp_le_u32_e64 s[4:5], s0, v9
	v_or_b32_e32 v17, v1, v8
	v_or_b32_e32 v31, v17, v6
	v_cndmask_b32_e64 v10, v10, v11, s[4:5]
	v_subrev_u32_e32 v11, s0, v9
	v_cndmask_b32_e64 v9, v9, v11, s[4:5]
	v_add_u32_e32 v11, 1, v10
	v_cmp_le_u32_e64 s[4:5], s0, v9
	v_ashrrev_i32_e32 v9, 31, v16
	v_xor_b32_e32 v9, s26, v9
	v_cndmask_b32_e64 v22, v10, v11, s[4:5]
	v_sub_u32_e32 v10, 1, v3
	v_max_i32_e32 v10, v16, v10
	v_mul_hi_u32 v11, v10, v15
	v_mul_lo_u32 v15, v11, s0
	v_sub_u32_e32 v10, v10, v15
	v_add_u32_e32 v15, 1, v11
	v_cmp_le_u32_e64 s[4:5], s0, v10
	v_or_b32_e32 v34, v12, v6
	s_nop 0
	v_cndmask_b32_e64 v11, v11, v15, s[4:5]
	v_subrev_u32_e32 v15, s0, v10
	v_cndmask_b32_e64 v10, v10, v15, s[4:5]
	v_add_u32_e32 v15, 1, v11
	v_cmp_le_u32_e64 s[4:5], s0, v10
	s_nop 1
	v_cndmask_b32_e64 v10, v11, v15, s[4:5]
	v_add_u32_e32 v15, -1, v2
	v_sub_u32_e32 v11, 1, v2
	v_max_i32_e32 v11, v15, v11
	v_xor_b32_e32 v10, v10, v9
	v_mul_hi_u32 v18, v11, v27
	v_sub_u32_e32 v10, v10, v9
	v_or_b32_e32 v9, v20, v6
	v_cmp_gt_i32_e64 s[4:5], s87, v1
	v_mul_lo_u32 v19, v18, s33
	v_cmp_lt_i32_e64 s[6:7], -1, v9
	s_and_b64 s[12:13], s[4:5], s[2:3]
	v_sub_u32_e32 v11, v11, v19
	s_and_b64 s[0:1], s[12:13], s[6:7]
	v_add_u32_e32 v19, 1, v18
	v_cmp_le_u32_e64 s[6:7], s33, v11
	v_ashrrev_i32_e32 v9, 31, v15
	v_xor_b32_e32 v9, s10, v9
	v_cndmask_b32_e64 v18, v18, v19, s[6:7]
	v_subrev_u32_e32 v19, s33, v11
	v_cndmask_b32_e64 v11, v11, v19, s[6:7]
	v_add_u32_e32 v19, 1, v18
	v_cmp_le_u32_e64 s[6:7], s33, v11
	s_and_b64 s[0:1], s[0:1], vcc
	v_writelane_b32 v126, s0, 51
	v_cndmask_b32_e64 v11, v18, v19, s[6:7]
	v_xor_b32_e32 v11, v11, v9
	v_add_u32_e32 v18, -2, v2
	v_sub_u32_e32 v9, v11, v9
	v_max_i32_e32 v21, v18, v21
	v_or_b32_e32 v25, v9, v0
	v_mul_hi_u32 v27, v21, v27
	v_or_b32_e32 v11, v25, v6
	v_cmp_gt_i32_e64 s[6:7], s87, v9
	v_mul_lo_u32 v28, v27, s33
	v_cmp_lt_i32_e64 s[8:9], -1, v11
	s_and_b64 s[14:15], s[6:7], s[2:3]
	v_sub_u32_e32 v21, v21, v28
	v_writelane_b32 v126, s1, 52
	s_and_b64 s[0:1], s[14:15], s[8:9]
	v_add_u32_e32 v28, 1, v27
	v_cmp_le_u32_e64 s[8:9], s33, v21
	v_ashrrev_i32_e32 v11, 31, v18
	v_xor_b32_e32 v11, s10, v11
	v_cndmask_b32_e64 v27, v27, v28, s[8:9]
	v_subrev_u32_e32 v28, s33, v21
	v_cndmask_b32_e64 v21, v21, v28, s[8:9]
	v_add_u32_e32 v28, 1, v27
	v_cmp_le_u32_e64 s[8:9], s33, v21
	s_and_b64 s[0:1], s[0:1], vcc
	v_writelane_b32 v126, s0, 53
	v_cndmask_b32_e64 v21, v27, v28, s[8:9]
	v_xor_b32_e32 v21, v21, v11
	v_sub_u32_e32 v11, v21, v11
	v_or_b32_e32 v28, v11, v0
	v_or_b32_e32 v30, v28, v6
	v_cmp_gt_i32_e64 s[10:11], s87, v11
	v_cmp_lt_i32_e64 s[8:9], -1, v30
	s_and_b64 s[16:17], s[10:11], s[2:3]
	v_writelane_b32 v126, s1, 54
	s_and_b64 s[0:1], s[16:17], s[8:9]
	s_and_b64 s[0:1], s[0:1], vcc
	v_cmp_gt_i32_e64 s[2:3], s86, v8
	v_writelane_b32 v126, s0, 55
	v_cmp_lt_i32_e64 s[8:9], -1, v31
	s_and_b64 s[20:21], s[4:5], s[2:3]
	v_or_b32_e32 v23, v9, v8
	v_writelane_b32 v126, s1, 56
	s_and_b64 s[0:1], s[20:21], s[8:9]
	s_and_b64 s[0:1], s[0:1], vcc
	v_or_b32_e32 v32, v23, v6
	v_writelane_b32 v126, s0, 57
	v_cmp_lt_i32_e64 s[8:9], -1, v32
	s_and_b64 s[22:23], s[6:7], s[2:3]
	v_or_b32_e32 v27, v11, v8
	v_writelane_b32 v126, s1, 58
	s_and_b64 s[0:1], s[22:23], s[8:9]
	s_and_b64 s[0:1], s[0:1], vcc
	v_or_b32_e32 v33, v27, v6
	v_writelane_b32 v126, s0, 59
	v_cmp_lt_i32_e64 s[8:9], -1, v33
	s_and_b64 s[24:25], s[10:11], s[2:3]
	v_writelane_b32 v126, s1, 60
	s_and_b64 s[0:1], s[24:25], s[8:9]
	s_and_b64 s[0:1], s[0:1], vcc
	v_cmp_gt_i32_e64 s[2:3], s86, v7
	v_writelane_b32 v126, s0, 61
	v_cmp_lt_i32_e64 s[8:9], -1, v34
	s_and_b64 s[18:19], s[4:5], s[2:3]
	v_or_b32_e32 v19, v9, v7
	v_writelane_b32 v126, s1, 62
	s_and_b64 s[0:1], s[18:19], s[8:9]
	v_or_b32_e32 v21, v11, v7
	s_and_b64 s[0:1], s[0:1], vcc
	v_or_b32_e32 v35, v19, v6
	v_writelane_b32 v126, s0, 63
	v_cmp_lt_i32_e64 s[4:5], -1, v35
	s_and_b64 s[8:9], s[6:7], s[2:3]
	v_or_b32_e32 v36, v21, v6
	v_or_b32_e32 v24, v20, v10
	v_writelane_b32 v127, s1, 0
	s_and_b64 s[0:1], s[8:9], s[4:5]
	v_cmp_lt_i32_e64 s[4:5], -1, v36
	s_and_b64 s[10:11], s[10:11], s[2:3]
	s_and_b64 s[78:79], s[0:1], vcc
	s_and_b64 s[0:1], s[10:11], s[4:5]
	v_cmp_lt_i32_e64 s[2:3], -1, v24
	v_or_b32_e32 v26, v25, v10
	s_and_b64 s[0:1], s[0:1], vcc
	v_cmp_gt_i32_e32 vcc, s85, v10
	s_and_b64 s[2:3], s[12:13], s[2:3]
	s_and_b64 s[76:77], s[2:3], vcc
	v_cmp_lt_i32_e64 s[2:3], -1, v26
	v_or_b32_e32 v29, v28, v10
	s_and_b64 s[2:3], s[14:15], s[2:3]
	s_and_b64 s[82:83], s[2:3], vcc
	v_cmp_lt_i32_e64 s[2:3], -1, v29
	v_or_b32_e32 v30, v17, v10
	;; [unrolled: 4-line block ×6, first 2 shown]
	s_and_b64 s[2:3], s[18:19], s[2:3]
	v_ashrrev_i32_e32 v24, 31, v14
	s_and_b64 s[74:75], s[2:3], vcc
	v_cmp_lt_i32_e64 s[2:3], -1, v34
	v_xor_b32_e32 v24, s26, v24
	v_or_b32_e32 v35, v21, v10
	s_and_b64 s[2:3], s[8:9], s[2:3]
	v_xor_b32_e32 v22, v22, v24
	s_and_b64 s[68:69], s[2:3], vcc
	v_cmp_lt_i32_e64 s[2:3], -1, v35
	v_sub_u32_e32 v22, v22, v24
	s_and_b64 s[2:3], s[10:11], s[2:3]
	v_or_b32_e32 v20, v20, v22
	s_and_b64 s[70:71], s[2:3], vcc
	v_cmp_lt_i32_e32 vcc, -1, v20
	v_or_b32_e32 v20, v25, v22
	s_and_b64 s[12:13], s[12:13], vcc
	v_cmp_lt_i32_e32 vcc, -1, v20
	;; [unrolled: 3-line block ×6, first 2 shown]
	v_mul_lo_u32 v17, v6, s44
	v_mul_lo_u32 v20, v0, s45
	;; [unrolled: 1-line block ×4, first 2 shown]
	s_and_b64 s[24:25], s[24:25], vcc
	v_cmp_eq_u32_e32 vcc, v17, v3
	v_cmp_eq_u32_e64 s[2:3], v20, v4
	v_cmp_eq_u32_e64 s[4:5], v23, v13
	;; [unrolled: 1-line block ×3, first 2 shown]
	v_mul_lo_u32 v3, v10, s44
	s_and_b64 s[26:27], vcc, s[2:3]
	s_and_b64 s[28:29], vcc, s[4:5]
	;; [unrolled: 1-line block ×3, first 2 shown]
	v_cmp_eq_u32_e32 vcc, v3, v16
	v_mul_lo_u32 v3, v22, s44
	v_mul_lo_u32 v6, v6, s86
	s_and_b64 s[34:35], vcc, s[2:3]
	s_and_b64 s[36:37], vcc, s[4:5]
	;; [unrolled: 1-line block ×3, first 2 shown]
	v_cmp_eq_u32_e32 vcc, v3, v14
	v_or_b32_e32 v3, v12, v22
	v_add_u32_e32 v12, v0, v6
	v_mul_lo_u32 v12, v12, s87
	v_mul_lo_u32 v4, v9, s46
	v_add_u32_e32 v14, v1, v12
	v_cmp_eq_u32_e64 s[52:53], v4, v15
	v_ashrrev_i32_e32 v15, 31, v14
	scratch_store_dwordx2 off, v[14:15], off ; 8-byte Folded Spill
	v_add_u32_e32 v14, v9, v12
	v_add_u32_e32 v12, v11, v12
	v_ashrrev_i32_e32 v13, 31, v12
	scratch_store_dwordx2 off, v[12:13], off offset:16 ; 8-byte Folded Spill
	v_add_u32_e32 v12, v8, v6
	v_ashrrev_i32_e32 v15, 31, v14
	v_mul_lo_u32 v12, v12, s87
	scratch_store_dwordx2 off, v[14:15], off offset:8 ; 8-byte Folded Spill
	v_add_u32_e32 v14, v1, v12
	v_ashrrev_i32_e32 v15, 31, v14
	scratch_store_dwordx2 off, v[14:15], off offset:24 ; 8-byte Folded Spill
	v_add_u32_e32 v14, v9, v12
	v_add_u32_e32 v12, v11, v12
	;; [unrolled: 1-line block ×3, first 2 shown]
	v_ashrrev_i32_e32 v13, 31, v12
	v_mul_lo_u32 v6, v6, s87
	scratch_store_dwordx2 off, v[12:13], off offset:40 ; 8-byte Folded Spill
	v_add_u32_e32 v12, v1, v6
	v_ashrrev_i32_e32 v13, 31, v12
	scratch_store_dwordx2 off, v[12:13], off offset:48 ; 8-byte Folded Spill
	v_add_u32_e32 v12, v9, v6
	v_ashrrev_i32_e32 v13, 31, v12
	scratch_store_dwordx2 off, v[12:13], off offset:56 ; 8-byte Folded Spill
	v_add_u32_e32 v12, v11, v6
	v_mul_lo_u32 v6, v10, s86
	v_add_u32_e32 v10, v0, v6
	v_ashrrev_i32_e32 v13, 31, v12
	v_mul_lo_u32 v10, v10, s87
	scratch_store_dwordx2 off, v[12:13], off offset:64 ; 8-byte Folded Spill
	v_add_u32_e32 v12, v1, v10
	v_ashrrev_i32_e32 v13, 31, v12
	scratch_store_dwordx2 off, v[12:13], off offset:72 ; 8-byte Folded Spill
	v_add_u32_e32 v12, v9, v10
	v_ashrrev_i32_e32 v13, 31, v12
	scratch_store_dwordx2 off, v[12:13], off offset:80 ; 8-byte Folded Spill
	v_add_u32_e32 v12, v11, v10
	v_add_u32_e32 v10, v8, v6
	v_ashrrev_i32_e32 v13, 31, v12
	v_mul_lo_u32 v10, v10, s87
	scratch_store_dwordx2 off, v[12:13], off offset:88 ; 8-byte Folded Spill
	v_add_u32_e32 v12, v1, v10
	v_ashrrev_i32_e32 v13, 31, v12
	scratch_store_dwordx2 off, v[12:13], off offset:96 ; 8-byte Folded Spill
	v_add_u32_e32 v12, v9, v10
	v_ashrrev_i32_e32 v13, 31, v12
	scratch_store_dwordx2 off, v[12:13], off offset:104 ; 8-byte Folded Spill
	v_add_u32_e32 v12, v11, v10
	;; [unrolled: 11-line block ×3, first 2 shown]
	v_mul_lo_u32 v6, v22, s86
	v_add_u32_e32 v0, v0, v6
	s_and_b64 s[42:43], vcc, s[2:3]
	s_and_b64 s[48:49], vcc, s[4:5]
	;; [unrolled: 1-line block ×3, first 2 shown]
	v_cmp_lt_i32_e32 vcc, -1, v3
	v_or_b32_e32 v3, v19, v22
	v_ashrrev_i32_e32 v13, 31, v12
	v_mul_lo_u32 v0, v0, s87
	s_and_b64 s[2:3], s[18:19], vcc
	v_cmp_lt_i32_e32 vcc, -1, v3
	v_or_b32_e32 v3, v21, v22
	scratch_store_dwordx2 off, v[12:13], off offset:136 ; 8-byte Folded Spill
	v_add_u32_e32 v12, v1, v0
	s_and_b64 s[4:5], s[8:9], vcc
	v_cmp_lt_i32_e32 vcc, -1, v3
	v_mul_lo_u32 v3, v1, s46
	v_mul_lo_u32 v5, v11, s46
	v_ashrrev_i32_e32 v13, 31, v12
	s_and_b64 s[6:7], s[10:11], vcc
	v_cmp_gt_i32_e32 vcc, s85, v22
	v_cmp_eq_u32_e64 s[50:51], v3, v2
	v_cmp_eq_u32_e64 s[54:55], v5, v18
	v_readlane_b32 s88, v126, 16
	scratch_store_dwordx2 off, v[12:13], off offset:144 ; 8-byte Folded Spill
	v_add_u32_e32 v12, v9, v0
	s_and_b64 s[90:91], s[12:13], vcc
	s_and_b64 s[64:65], s[14:15], vcc
	;; [unrolled: 1-line block ×9, first 2 shown]
	s_and_b64 vcc, s[26:27], s[50:51]
	s_and_b64 s[2:3], s[26:27], s[52:53]
	s_and_b64 s[4:5], s[26:27], s[54:55]
	;; [unrolled: 1-line block ×26, first 2 shown]
	v_mul_lo_u32 v52, v37, s88
	v_readlane_b32 s56, v126, 17
	v_ashrrev_i32_e32 v13, 31, v12
	scratch_store_dwordx2 off, v[12:13], off offset:152 ; 8-byte Folded Spill
	v_mul_lo_u32 v2, s56, v52
	v_readlane_b32 s56, v126, 22
	v_add_u32_e32 v12, v11, v0
	v_add_u32_e32 v0, v8, v6
	v_ashrrev_i32_e32 v3, 31, v2
	v_readlane_b32 s57, v126, 23
	v_ashrrev_i32_e32 v13, 31, v12
	v_mul_lo_u32 v0, v0, s87
	v_lshl_add_u64 v[2:3], v[2:3], 3, s[56:57]
	v_readlane_b32 s56, v126, 18
	scratch_store_dwordx2 off, v[12:13], off offset:160 ; 8-byte Folded Spill
	v_add_u32_e32 v12, v1, v0
	v_readlane_b32 s57, v126, 19
	v_ashrrev_i32_e32 v13, 31, v12
	v_mul_lo_u32 v4, s56, v38
	v_readlane_b32 s56, v126, 7
	scratch_store_dwordx2 off, v[12:13], off offset:168 ; 8-byte Folded Spill
	v_add_u32_e32 v12, v9, v0
	v_ashrrev_i32_e32 v5, 31, v4
	v_readlane_b32 s57, v126, 8
	v_ashrrev_i32_e32 v13, 31, v12
	scratch_store_dwordx2 off, v[12:13], off offset:176 ; 8-byte Folded Spill
	v_lshl_add_u64 v[4:5], v[4:5], 3, s[56:57]
	v_add_u32_e32 v12, v11, v0
	v_add_u32_e32 v0, v7, v6
	v_readlane_b32 s56, v126, 18
	v_mul_lo_u32 v0, v0, s87
	v_readlane_b32 s57, v126, 19
	v_add_u32_e32 v54, v1, v0
	v_add_u32_e32 v56, v9, v0
	;; [unrolled: 1-line block ×3, first 2 shown]
	s_mul_i32 s56, s57, s88
	v_add_u32_e32 v53, s88, v52
	v_ashrrev_i32_e32 v15, 31, v14
	v_ashrrev_i32_e32 v13, 31, v12
	;; [unrolled: 1-line block ×5, first 2 shown]
	v_mul_lo_u32 v60, s56, v37
	s_mov_b64 s[88:89], 0
	scratch_store_dwordx2 off, v[14:15], off offset:32 ; 8-byte Folded Spill
	scratch_store_dwordx2 off, v[12:13], off offset:184 ; 8-byte Folded Spill
	s_branch .LBB13_5
.LBB13_4:                               ;   in Loop: Header=BB13_5 Depth=2
	s_or_b64 exec, exec, s[56:57]
	s_waitcnt vmcnt(26)
	v_fma_f64 v[64:65], v[64:65], v[66:67], v[62:63]
	v_cndmask_b32_e32 v63, v63, v65, vcc
	v_cndmask_b32_e32 v62, v62, v64, vcc
	v_mov_b64_e32 v[64:65], v[62:63]
	s_waitcnt vmcnt(25)
	v_fmac_f64_e32 v[64:65], v[72:73], v[74:75]
	v_cndmask_b32_e64 v63, v63, v65, s[2:3]
	v_cndmask_b32_e64 v62, v62, v64, s[2:3]
	v_mov_b64_e32 v[64:65], v[62:63]
	s_waitcnt vmcnt(24)
	v_fmac_f64_e32 v[64:65], v[76:77], v[70:71]
	v_cndmask_b32_e64 v63, v63, v65, s[4:5]
	v_cndmask_b32_e64 v62, v62, v64, s[4:5]
	;; [unrolled: 5-line block ×24, first 2 shown]
	v_mov_b64_e32 v[6:7], v[0:1]
	s_waitcnt vmcnt(1)
	v_fmac_f64_e32 v[6:7], v[46:47], v[48:49]
	s_mov_b64 s[56:57], 0xd8
	v_add_u32_e32 v52, 1, v52
	v_cndmask_b32_e64 v1, v1, v7, s[52:53]
	v_cndmask_b32_e64 v0, v0, v6, s[52:53]
	v_lshl_add_u64 v[2:3], v[2:3], 0, s[56:57]
	v_cmp_ge_i32_e64 s[56:57], v52, v53
	v_mov_b64_e32 v[6:7], v[0:1]
	s_or_b64 s[88:89], s[56:57], s[88:89]
	v_readlane_b32 s56, v126, 18
	s_waitcnt vmcnt(0)
	v_fmac_f64_e32 v[6:7], v[50:51], v[44:45]
	v_readlane_b32 s57, v126, 19
	v_cndmask_b32_e64 v63, v1, v7, s[54:55]
	v_cndmask_b32_e64 v62, v0, v6, s[54:55]
	v_add_u32_e32 v60, s57, v60
	s_andn2_b64 exec, exec, s[88:89]
	s_cbranch_execz .LBB13_59
.LBB13_5:                               ;   Parent Loop BB13_2 Depth=1
                                        ; =>  This Inner Loop Header: Depth=2
	global_load_dwordx2 v[64:65], v[2:3], off
	v_ashrrev_i32_e32 v61, 31, v60
	v_lshl_add_u64 v[68:69], v[60:61], 3, v[4:5]
	v_mov_b64_e32 v[66:67], 0
	s_mov_b64 s[56:57], exec
	v_readlane_b32 s86, v126, 51
	v_readlane_b32 s87, v126, 52
	s_and_b64 s[86:87], s[56:57], s[86:87]
	s_mov_b64 exec, s[86:87]
	s_cbranch_execz .LBB13_7
; %bb.6:                                ;   in Loop: Header=BB13_5 Depth=2
	scratch_load_dwordx2 v[0:1], off, off   ; 8-byte Folded Reload
	s_waitcnt vmcnt(0)
	v_lshl_add_u64 v[0:1], v[0:1], 3, v[68:69]
	global_load_dwordx2 v[66:67], v[0:1], off
.LBB13_7:                               ;   in Loop: Header=BB13_5 Depth=2
	s_or_b64 exec, exec, s[56:57]
	global_load_dwordx2 v[72:73], v[2:3], off offset:8
	v_mov_b64_e32 v[70:71], 0
	v_mov_b64_e32 v[74:75], 0
	s_mov_b64 s[56:57], exec
	v_readlane_b32 s86, v126, 53
	v_readlane_b32 s87, v126, 54
	s_and_b64 s[86:87], s[56:57], s[86:87]
	s_mov_b64 exec, s[86:87]
	s_cbranch_execz .LBB13_9
; %bb.8:                                ;   in Loop: Header=BB13_5 Depth=2
	scratch_load_dwordx2 v[0:1], off, off offset:8 ; 8-byte Folded Reload
	s_waitcnt vmcnt(0)
	v_lshl_add_u64 v[0:1], v[0:1], 3, v[68:69]
	global_load_dwordx2 v[74:75], v[0:1], off
.LBB13_9:                               ;   in Loop: Header=BB13_5 Depth=2
	s_or_b64 exec, exec, s[56:57]
	global_load_dwordx2 v[76:77], v[2:3], off offset:16
	s_mov_b64 s[56:57], exec
	v_readlane_b32 s86, v126, 55
	v_readlane_b32 s87, v126, 56
	s_and_b64 s[86:87], s[56:57], s[86:87]
	s_mov_b64 exec, s[86:87]
	s_cbranch_execz .LBB13_11
; %bb.10:                               ;   in Loop: Header=BB13_5 Depth=2
	scratch_load_dwordx2 v[0:1], off, off offset:16 ; 8-byte Folded Reload
	s_waitcnt vmcnt(0)
	v_lshl_add_u64 v[0:1], v[0:1], 3, v[68:69]
	global_load_dwordx2 v[70:71], v[0:1], off
.LBB13_11:                              ;   in Loop: Header=BB13_5 Depth=2
	s_or_b64 exec, exec, s[56:57]
	global_load_dwordx2 v[80:81], v[2:3], off offset:24
	v_mov_b64_e32 v[78:79], 0
	v_mov_b64_e32 v[82:83], 0
	s_mov_b64 s[56:57], exec
	v_readlane_b32 s86, v126, 57
	v_readlane_b32 s87, v126, 58
	s_and_b64 s[86:87], s[56:57], s[86:87]
	s_mov_b64 exec, s[86:87]
	s_cbranch_execz .LBB13_13
; %bb.12:                               ;   in Loop: Header=BB13_5 Depth=2
	scratch_load_dwordx2 v[0:1], off, off offset:24 ; 8-byte Folded Reload
	s_waitcnt vmcnt(0)
	v_lshl_add_u64 v[0:1], v[0:1], 3, v[68:69]
	global_load_dwordx2 v[82:83], v[0:1], off
.LBB13_13:                              ;   in Loop: Header=BB13_5 Depth=2
	s_or_b64 exec, exec, s[56:57]
	global_load_dwordx2 v[84:85], v[2:3], off offset:32
	s_mov_b64 s[56:57], exec
	v_readlane_b32 s86, v126, 59
	v_readlane_b32 s87, v126, 60
	s_and_b64 s[86:87], s[56:57], s[86:87]
	s_mov_b64 exec, s[86:87]
	s_cbranch_execz .LBB13_15
; %bb.14:                               ;   in Loop: Header=BB13_5 Depth=2
	scratch_load_dwordx2 v[0:1], off, off offset:32 ; 8-byte Folded Reload
	s_waitcnt vmcnt(0)
	v_lshl_add_u64 v[0:1], v[0:1], 3, v[68:69]
	global_load_dwordx2 v[78:79], v[0:1], off
.LBB13_15:                              ;   in Loop: Header=BB13_5 Depth=2
	s_or_b64 exec, exec, s[56:57]
	global_load_dwordx2 v[88:89], v[2:3], off offset:40
	v_mov_b64_e32 v[86:87], 0
	v_mov_b64_e32 v[90:91], 0
	s_mov_b64 s[56:57], exec
	v_readlane_b32 s86, v126, 61
	v_readlane_b32 s87, v126, 62
	s_and_b64 s[86:87], s[56:57], s[86:87]
	s_mov_b64 exec, s[86:87]
	s_cbranch_execz .LBB13_17
; %bb.16:                               ;   in Loop: Header=BB13_5 Depth=2
	scratch_load_dwordx2 v[0:1], off, off offset:40 ; 8-byte Folded Reload
	s_waitcnt vmcnt(0)
	v_lshl_add_u64 v[0:1], v[0:1], 3, v[68:69]
	global_load_dwordx2 v[90:91], v[0:1], off
.LBB13_17:                              ;   in Loop: Header=BB13_5 Depth=2
	s_or_b64 exec, exec, s[56:57]
	global_load_dwordx2 v[92:93], v[2:3], off offset:48
	s_mov_b64 s[56:57], exec
	v_readlane_b32 s86, v126, 63
	v_readlane_b32 s87, v127, 0
	s_and_b64 s[86:87], s[56:57], s[86:87]
	s_mov_b64 exec, s[86:87]
	s_cbranch_execz .LBB13_19
; %bb.18:                               ;   in Loop: Header=BB13_5 Depth=2
	scratch_load_dwordx2 v[0:1], off, off offset:48 ; 8-byte Folded Reload
	s_waitcnt vmcnt(0)
	v_lshl_add_u64 v[0:1], v[0:1], 3, v[68:69]
	global_load_dwordx2 v[86:87], v[0:1], off
.LBB13_19:                              ;   in Loop: Header=BB13_5 Depth=2
	s_or_b64 exec, exec, s[56:57]
	global_load_dwordx2 v[96:97], v[2:3], off offset:56
	v_mov_b64_e32 v[94:95], 0
	v_mov_b64_e32 v[98:99], 0
	s_and_saveexec_b64 s[56:57], s[78:79]
	s_cbranch_execz .LBB13_21
; %bb.20:                               ;   in Loop: Header=BB13_5 Depth=2
	scratch_load_dwordx2 v[0:1], off, off offset:56 ; 8-byte Folded Reload
	s_waitcnt vmcnt(0)
	v_lshl_add_u64 v[0:1], v[0:1], 3, v[68:69]
	global_load_dwordx2 v[98:99], v[0:1], off
.LBB13_21:                              ;   in Loop: Header=BB13_5 Depth=2
	s_or_b64 exec, exec, s[56:57]
	global_load_dwordx2 v[100:101], v[2:3], off offset:64
	s_and_saveexec_b64 s[56:57], s[0:1]
	s_cbranch_execz .LBB13_23
; %bb.22:                               ;   in Loop: Header=BB13_5 Depth=2
	scratch_load_dwordx2 v[0:1], off, off offset:64 ; 8-byte Folded Reload
	s_waitcnt vmcnt(0)
	v_lshl_add_u64 v[0:1], v[0:1], 3, v[68:69]
	global_load_dwordx2 v[94:95], v[0:1], off
.LBB13_23:                              ;   in Loop: Header=BB13_5 Depth=2
	s_or_b64 exec, exec, s[56:57]
	global_load_dwordx2 v[104:105], v[2:3], off offset:72
	v_mov_b64_e32 v[102:103], 0
	v_mov_b64_e32 v[106:107], 0
	s_and_saveexec_b64 s[56:57], s[76:77]
	s_cbranch_execz .LBB13_25
; %bb.24:                               ;   in Loop: Header=BB13_5 Depth=2
	scratch_load_dwordx2 v[0:1], off, off offset:72 ; 8-byte Folded Reload
	s_waitcnt vmcnt(0)
	v_lshl_add_u64 v[0:1], v[0:1], 3, v[68:69]
	global_load_dwordx2 v[106:107], v[0:1], off
.LBB13_25:                              ;   in Loop: Header=BB13_5 Depth=2
	s_or_b64 exec, exec, s[56:57]
	global_load_dwordx2 v[108:109], v[2:3], off offset:80
	s_and_saveexec_b64 s[56:57], s[82:83]
	;; [unrolled: 22-line block ×9, first 2 shown]
	s_cbranch_execz .LBB13_55
; %bb.54:                               ;   in Loop: Header=BB13_5 Depth=2
	v_lshl_add_u64 v[36:37], v[54:55], 3, v[68:69]
	global_load_dwordx2 v[36:37], v[36:37], off
.LBB13_55:                              ;   in Loop: Header=BB13_5 Depth=2
	s_or_b64 exec, exec, s[56:57]
	global_load_dwordx2 v[46:47], v[2:3], off offset:200
	v_mov_b64_e32 v[44:45], 0
	v_mov_b64_e32 v[48:49], 0
	s_and_saveexec_b64 s[56:57], s[98:99]
	s_cbranch_execz .LBB13_57
; %bb.56:                               ;   in Loop: Header=BB13_5 Depth=2
	v_lshl_add_u64 v[48:49], v[56:57], 3, v[68:69]
	global_load_dwordx2 v[48:49], v[48:49], off
.LBB13_57:                              ;   in Loop: Header=BB13_5 Depth=2
	s_or_b64 exec, exec, s[56:57]
	global_load_dwordx2 v[50:51], v[2:3], off offset:208
	s_and_saveexec_b64 s[56:57], s[80:81]
	s_cbranch_execz .LBB13_4
; %bb.58:                               ;   in Loop: Header=BB13_5 Depth=2
	v_lshl_add_u64 v[44:45], v[58:59], 3, v[68:69]
	global_load_dwordx2 v[44:45], v[44:45], off
	s_branch .LBB13_4
.LBB13_59:                              ;   in Loop: Header=BB13_2 Depth=1
	s_or_b64 exec, exec, s[88:89]
	scratch_load_dword v5, off, off offset:200 ; 4-byte Folded Reload
	scratch_load_dword v6, off, off offset:204 ; 4-byte Folded Reload
	;; [unrolled: 1-line block ×5, first 2 shown]
	v_readlane_b32 s16, v126, 47
	v_readlane_b32 s17, v126, 48
	s_branch .LBB13_61
.LBB13_60:                              ;   in Loop: Header=BB13_2 Depth=1
	v_mov_b64_e32 v[62:63], 0
.LBB13_61:                              ;   in Loop: Header=BB13_2 Depth=1
	v_readlane_b32 s4, v126, 49
	v_readlane_b32 s5, v126, 50
; %bb.62:                               ;   in Loop: Header=BB13_2 Depth=1
	s_waitcnt vmcnt(0)
	v_mul_lo_u32 v0, v38, s17
	v_readlane_b32 s0, v126, 20
	v_ashrrev_i32_e32 v1, 31, v0
	v_readlane_b32 s1, v126, 21
	s_nop 1
	v_lshl_add_u64 v[0:1], v[0:1], 3, s[0:1]
	v_readlane_b32 s0, v126, 24
	v_readlane_b32 s1, v126, 25
	;; [unrolled: 1-line block ×3, first 2 shown]
	v_mul_lo_u32 v2, s0, v37
	v_ashrrev_i32_e32 v3, 31, v2
	v_lshl_add_u64 v[0:1], v[2:3], 3, v[0:1]
	v_mul_lo_u32 v2, s1, v7
	v_ashrrev_i32_e32 v3, 31, v2
	v_lshl_add_u64 v[0:1], v[2:3], 3, v[0:1]
	v_mul_lo_u32 v2, s2, v6
	v_readlane_b32 s3, v126, 27
	v_ashrrev_i32_e32 v3, 31, v2
	v_lshl_add_u64 v[0:1], v[2:3], 3, v[0:1]
	v_mul_lo_u32 v2, s3, v5
	scratch_load_dwordx2 v[4:5], off, off offset:192 ; 8-byte Folded Reload
	v_readlane_b32 s0, v126, 28
	v_readlane_b32 s1, v126, 29
	v_ashrrev_i32_e32 v3, 31, v2
	v_lshl_add_u64 v[0:1], v[2:3], 3, v[0:1]
	global_store_dwordx2 v[0:1], v[62:63], off
	s_waitcnt vmcnt(1)
	v_lshl_add_u64 v[4:5], v[4:5], 0, s[0:1]
	v_readlane_b32 s0, v126, 5
	v_readlane_b32 s1, v126, 6
	s_nop 1
	v_cmp_le_i64_e32 vcc, s[0:1], v[4:5]
	s_or_b64 s[4:5], vcc, s[4:5]
	s_andn2_b64 exec, exec, s[4:5]
	s_cbranch_execnz .LBB13_2
.LBB13_63:
	s_endpgm
	.section	.rodata,"a",@progbits
	.p2align	6, 0x0
	.amdhsa_kernel _ZN2at6native12_GLOBAL__N_143conv_depthwise3d_cuda_backward_input_kernelIddLi3ELi3ELi3ELi1ELi1ELi1ELin1ELin1ELin1EEEvN5torch10headeronly6detail27GenericPackedTensorAccessorINS5_14TensorAccessorIN3c108ArrayRefIlEEKT_Lm4ENS4_16DefaultPtrTraitsEiEENS_6detail16IndexBoundsCheckILm5EiEESC_Lm5ESD_iEENS6_INS7_ISA_SB_Lm4ESD_iEESH_SB_Lm5ESD_iEESI_iiiiiiiii
		.amdhsa_group_segment_fixed_size 0
		.amdhsa_private_segment_fixed_size 252
		.amdhsa_kernarg_size 440
		.amdhsa_user_sgpr_count 2
		.amdhsa_user_sgpr_dispatch_ptr 0
		.amdhsa_user_sgpr_queue_ptr 0
		.amdhsa_user_sgpr_kernarg_segment_ptr 1
		.amdhsa_user_sgpr_dispatch_id 0
		.amdhsa_user_sgpr_kernarg_preload_length 0
		.amdhsa_user_sgpr_kernarg_preload_offset 0
		.amdhsa_user_sgpr_private_segment_size 0
		.amdhsa_uses_dynamic_stack 0
		.amdhsa_enable_private_segment 1
		.amdhsa_system_sgpr_workgroup_id_x 1
		.amdhsa_system_sgpr_workgroup_id_y 0
		.amdhsa_system_sgpr_workgroup_id_z 0
		.amdhsa_system_sgpr_workgroup_info 0
		.amdhsa_system_vgpr_workitem_id 0
		.amdhsa_next_free_vgpr 128
		.amdhsa_next_free_sgpr 100
		.amdhsa_accum_offset 128
		.amdhsa_reserve_vcc 1
		.amdhsa_float_round_mode_32 0
		.amdhsa_float_round_mode_16_64 0
		.amdhsa_float_denorm_mode_32 3
		.amdhsa_float_denorm_mode_16_64 3
		.amdhsa_dx10_clamp 1
		.amdhsa_ieee_mode 1
		.amdhsa_fp16_overflow 0
		.amdhsa_tg_split 0
		.amdhsa_exception_fp_ieee_invalid_op 0
		.amdhsa_exception_fp_denorm_src 0
		.amdhsa_exception_fp_ieee_div_zero 0
		.amdhsa_exception_fp_ieee_overflow 0
		.amdhsa_exception_fp_ieee_underflow 0
		.amdhsa_exception_fp_ieee_inexact 0
		.amdhsa_exception_int_div_zero 0
	.end_amdhsa_kernel
	.section	.text._ZN2at6native12_GLOBAL__N_143conv_depthwise3d_cuda_backward_input_kernelIddLi3ELi3ELi3ELi1ELi1ELi1ELin1ELin1ELin1EEEvN5torch10headeronly6detail27GenericPackedTensorAccessorINS5_14TensorAccessorIN3c108ArrayRefIlEEKT_Lm4ENS4_16DefaultPtrTraitsEiEENS_6detail16IndexBoundsCheckILm5EiEESC_Lm5ESD_iEENS6_INS7_ISA_SB_Lm4ESD_iEESH_SB_Lm5ESD_iEESI_iiiiiiiii,"axG",@progbits,_ZN2at6native12_GLOBAL__N_143conv_depthwise3d_cuda_backward_input_kernelIddLi3ELi3ELi3ELi1ELi1ELi1ELin1ELin1ELin1EEEvN5torch10headeronly6detail27GenericPackedTensorAccessorINS5_14TensorAccessorIN3c108ArrayRefIlEEKT_Lm4ENS4_16DefaultPtrTraitsEiEENS_6detail16IndexBoundsCheckILm5EiEESC_Lm5ESD_iEENS6_INS7_ISA_SB_Lm4ESD_iEESH_SB_Lm5ESD_iEESI_iiiiiiiii,comdat
.Lfunc_end13:
	.size	_ZN2at6native12_GLOBAL__N_143conv_depthwise3d_cuda_backward_input_kernelIddLi3ELi3ELi3ELi1ELi1ELi1ELin1ELin1ELin1EEEvN5torch10headeronly6detail27GenericPackedTensorAccessorINS5_14TensorAccessorIN3c108ArrayRefIlEEKT_Lm4ENS4_16DefaultPtrTraitsEiEENS_6detail16IndexBoundsCheckILm5EiEESC_Lm5ESD_iEENS6_INS7_ISA_SB_Lm4ESD_iEESH_SB_Lm5ESD_iEESI_iiiiiiiii, .Lfunc_end13-_ZN2at6native12_GLOBAL__N_143conv_depthwise3d_cuda_backward_input_kernelIddLi3ELi3ELi3ELi1ELi1ELi1ELin1ELin1ELin1EEEvN5torch10headeronly6detail27GenericPackedTensorAccessorINS5_14TensorAccessorIN3c108ArrayRefIlEEKT_Lm4ENS4_16DefaultPtrTraitsEiEENS_6detail16IndexBoundsCheckILm5EiEESC_Lm5ESD_iEENS6_INS7_ISA_SB_Lm4ESD_iEESH_SB_Lm5ESD_iEESI_iiiiiiiii
                                        ; -- End function
	.set _ZN2at6native12_GLOBAL__N_143conv_depthwise3d_cuda_backward_input_kernelIddLi3ELi3ELi3ELi1ELi1ELi1ELin1ELin1ELin1EEEvN5torch10headeronly6detail27GenericPackedTensorAccessorINS5_14TensorAccessorIN3c108ArrayRefIlEEKT_Lm4ENS4_16DefaultPtrTraitsEiEENS_6detail16IndexBoundsCheckILm5EiEESC_Lm5ESD_iEENS6_INS7_ISA_SB_Lm4ESD_iEESH_SB_Lm5ESD_iEESI_iiiiiiiii.num_vgpr, 128
	.set _ZN2at6native12_GLOBAL__N_143conv_depthwise3d_cuda_backward_input_kernelIddLi3ELi3ELi3ELi1ELi1ELi1ELin1ELin1ELin1EEEvN5torch10headeronly6detail27GenericPackedTensorAccessorINS5_14TensorAccessorIN3c108ArrayRefIlEEKT_Lm4ENS4_16DefaultPtrTraitsEiEENS_6detail16IndexBoundsCheckILm5EiEESC_Lm5ESD_iEENS6_INS7_ISA_SB_Lm4ESD_iEESH_SB_Lm5ESD_iEESI_iiiiiiiii.num_agpr, 0
	.set _ZN2at6native12_GLOBAL__N_143conv_depthwise3d_cuda_backward_input_kernelIddLi3ELi3ELi3ELi1ELi1ELi1ELin1ELin1ELin1EEEvN5torch10headeronly6detail27GenericPackedTensorAccessorINS5_14TensorAccessorIN3c108ArrayRefIlEEKT_Lm4ENS4_16DefaultPtrTraitsEiEENS_6detail16IndexBoundsCheckILm5EiEESC_Lm5ESD_iEENS6_INS7_ISA_SB_Lm4ESD_iEESH_SB_Lm5ESD_iEESI_iiiiiiiii.numbered_sgpr, 100
	.set _ZN2at6native12_GLOBAL__N_143conv_depthwise3d_cuda_backward_input_kernelIddLi3ELi3ELi3ELi1ELi1ELi1ELin1ELin1ELin1EEEvN5torch10headeronly6detail27GenericPackedTensorAccessorINS5_14TensorAccessorIN3c108ArrayRefIlEEKT_Lm4ENS4_16DefaultPtrTraitsEiEENS_6detail16IndexBoundsCheckILm5EiEESC_Lm5ESD_iEENS6_INS7_ISA_SB_Lm4ESD_iEESH_SB_Lm5ESD_iEESI_iiiiiiiii.num_named_barrier, 0
	.set _ZN2at6native12_GLOBAL__N_143conv_depthwise3d_cuda_backward_input_kernelIddLi3ELi3ELi3ELi1ELi1ELi1ELin1ELin1ELin1EEEvN5torch10headeronly6detail27GenericPackedTensorAccessorINS5_14TensorAccessorIN3c108ArrayRefIlEEKT_Lm4ENS4_16DefaultPtrTraitsEiEENS_6detail16IndexBoundsCheckILm5EiEESC_Lm5ESD_iEENS6_INS7_ISA_SB_Lm4ESD_iEESH_SB_Lm5ESD_iEESI_iiiiiiiii.private_seg_size, 252
	.set _ZN2at6native12_GLOBAL__N_143conv_depthwise3d_cuda_backward_input_kernelIddLi3ELi3ELi3ELi1ELi1ELi1ELin1ELin1ELin1EEEvN5torch10headeronly6detail27GenericPackedTensorAccessorINS5_14TensorAccessorIN3c108ArrayRefIlEEKT_Lm4ENS4_16DefaultPtrTraitsEiEENS_6detail16IndexBoundsCheckILm5EiEESC_Lm5ESD_iEENS6_INS7_ISA_SB_Lm4ESD_iEESH_SB_Lm5ESD_iEESI_iiiiiiiii.uses_vcc, 1
	.set _ZN2at6native12_GLOBAL__N_143conv_depthwise3d_cuda_backward_input_kernelIddLi3ELi3ELi3ELi1ELi1ELi1ELin1ELin1ELin1EEEvN5torch10headeronly6detail27GenericPackedTensorAccessorINS5_14TensorAccessorIN3c108ArrayRefIlEEKT_Lm4ENS4_16DefaultPtrTraitsEiEENS_6detail16IndexBoundsCheckILm5EiEESC_Lm5ESD_iEENS6_INS7_ISA_SB_Lm4ESD_iEESH_SB_Lm5ESD_iEESI_iiiiiiiii.uses_flat_scratch, 0
	.set _ZN2at6native12_GLOBAL__N_143conv_depthwise3d_cuda_backward_input_kernelIddLi3ELi3ELi3ELi1ELi1ELi1ELin1ELin1ELin1EEEvN5torch10headeronly6detail27GenericPackedTensorAccessorINS5_14TensorAccessorIN3c108ArrayRefIlEEKT_Lm4ENS4_16DefaultPtrTraitsEiEENS_6detail16IndexBoundsCheckILm5EiEESC_Lm5ESD_iEENS6_INS7_ISA_SB_Lm4ESD_iEESH_SB_Lm5ESD_iEESI_iiiiiiiii.has_dyn_sized_stack, 0
	.set _ZN2at6native12_GLOBAL__N_143conv_depthwise3d_cuda_backward_input_kernelIddLi3ELi3ELi3ELi1ELi1ELi1ELin1ELin1ELin1EEEvN5torch10headeronly6detail27GenericPackedTensorAccessorINS5_14TensorAccessorIN3c108ArrayRefIlEEKT_Lm4ENS4_16DefaultPtrTraitsEiEENS_6detail16IndexBoundsCheckILm5EiEESC_Lm5ESD_iEENS6_INS7_ISA_SB_Lm4ESD_iEESH_SB_Lm5ESD_iEESI_iiiiiiiii.has_recursion, 0
	.set _ZN2at6native12_GLOBAL__N_143conv_depthwise3d_cuda_backward_input_kernelIddLi3ELi3ELi3ELi1ELi1ELi1ELin1ELin1ELin1EEEvN5torch10headeronly6detail27GenericPackedTensorAccessorINS5_14TensorAccessorIN3c108ArrayRefIlEEKT_Lm4ENS4_16DefaultPtrTraitsEiEENS_6detail16IndexBoundsCheckILm5EiEESC_Lm5ESD_iEENS6_INS7_ISA_SB_Lm4ESD_iEESH_SB_Lm5ESD_iEESI_iiiiiiiii.has_indirect_call, 0
	.section	.AMDGPU.csdata,"",@progbits
; Kernel info:
; codeLenInByte = 7244
; TotalNumSgprs: 106
; NumVgprs: 128
; NumAgprs: 0
; TotalNumVgprs: 128
; ScratchSize: 252
; MemoryBound: 0
; FloatMode: 240
; IeeeMode: 1
; LDSByteSize: 0 bytes/workgroup (compile time only)
; SGPRBlocks: 13
; VGPRBlocks: 15
; NumSGPRsForWavesPerEU: 106
; NumVGPRsForWavesPerEU: 128
; AccumOffset: 128
; Occupancy: 4
; WaveLimiterHint : 0
; COMPUTE_PGM_RSRC2:SCRATCH_EN: 1
; COMPUTE_PGM_RSRC2:USER_SGPR: 2
; COMPUTE_PGM_RSRC2:TRAP_HANDLER: 0
; COMPUTE_PGM_RSRC2:TGID_X_EN: 1
; COMPUTE_PGM_RSRC2:TGID_Y_EN: 0
; COMPUTE_PGM_RSRC2:TGID_Z_EN: 0
; COMPUTE_PGM_RSRC2:TIDIG_COMP_CNT: 0
; COMPUTE_PGM_RSRC3_GFX90A:ACCUM_OFFSET: 31
; COMPUTE_PGM_RSRC3_GFX90A:TG_SPLIT: 0
	.section	.text._ZN2at6native12_GLOBAL__N_143conv_depthwise3d_cuda_backward_input_kernelIddLi3ELi3ELi3ELin1ELin1ELin1ELi1ELi1ELi1EEEvN5torch10headeronly6detail27GenericPackedTensorAccessorINS5_14TensorAccessorIN3c108ArrayRefIlEEKT_Lm4ENS4_16DefaultPtrTraitsEiEENS_6detail16IndexBoundsCheckILm5EiEESC_Lm5ESD_iEENS6_INS7_ISA_SB_Lm4ESD_iEESH_SB_Lm5ESD_iEESI_iiiiiiiii,"axG",@progbits,_ZN2at6native12_GLOBAL__N_143conv_depthwise3d_cuda_backward_input_kernelIddLi3ELi3ELi3ELin1ELin1ELin1ELi1ELi1ELi1EEEvN5torch10headeronly6detail27GenericPackedTensorAccessorINS5_14TensorAccessorIN3c108ArrayRefIlEEKT_Lm4ENS4_16DefaultPtrTraitsEiEENS_6detail16IndexBoundsCheckILm5EiEESC_Lm5ESD_iEENS6_INS7_ISA_SB_Lm4ESD_iEESH_SB_Lm5ESD_iEESI_iiiiiiiii,comdat
	.globl	_ZN2at6native12_GLOBAL__N_143conv_depthwise3d_cuda_backward_input_kernelIddLi3ELi3ELi3ELin1ELin1ELin1ELi1ELi1ELi1EEEvN5torch10headeronly6detail27GenericPackedTensorAccessorINS5_14TensorAccessorIN3c108ArrayRefIlEEKT_Lm4ENS4_16DefaultPtrTraitsEiEENS_6detail16IndexBoundsCheckILm5EiEESC_Lm5ESD_iEENS6_INS7_ISA_SB_Lm4ESD_iEESH_SB_Lm5ESD_iEESI_iiiiiiiii ; -- Begin function _ZN2at6native12_GLOBAL__N_143conv_depthwise3d_cuda_backward_input_kernelIddLi3ELi3ELi3ELin1ELin1ELin1ELi1ELi1ELi1EEEvN5torch10headeronly6detail27GenericPackedTensorAccessorINS5_14TensorAccessorIN3c108ArrayRefIlEEKT_Lm4ENS4_16DefaultPtrTraitsEiEENS_6detail16IndexBoundsCheckILm5EiEESC_Lm5ESD_iEENS6_INS7_ISA_SB_Lm4ESD_iEESH_SB_Lm5ESD_iEESI_iiiiiiiii
	.p2align	8
	.type	_ZN2at6native12_GLOBAL__N_143conv_depthwise3d_cuda_backward_input_kernelIddLi3ELi3ELi3ELin1ELin1ELin1ELi1ELi1ELi1EEEvN5torch10headeronly6detail27GenericPackedTensorAccessorINS5_14TensorAccessorIN3c108ArrayRefIlEEKT_Lm4ENS4_16DefaultPtrTraitsEiEENS_6detail16IndexBoundsCheckILm5EiEESC_Lm5ESD_iEENS6_INS7_ISA_SB_Lm4ESD_iEESH_SB_Lm5ESD_iEESI_iiiiiiiii,@function
_ZN2at6native12_GLOBAL__N_143conv_depthwise3d_cuda_backward_input_kernelIddLi3ELi3ELi3ELin1ELin1ELin1ELi1ELi1ELi1EEEvN5torch10headeronly6detail27GenericPackedTensorAccessorINS5_14TensorAccessorIN3c108ArrayRefIlEEKT_Lm4ENS4_16DefaultPtrTraitsEiEENS_6detail16IndexBoundsCheckILm5EiEESC_Lm5ESD_iEENS6_INS7_ISA_SB_Lm4ESD_iEESH_SB_Lm5ESD_iEESI_iiiiiiiii: ; @_ZN2at6native12_GLOBAL__N_143conv_depthwise3d_cuda_backward_input_kernelIddLi3ELi3ELi3ELin1ELin1ELin1ELi1ELi1ELi1EEEvN5torch10headeronly6detail27GenericPackedTensorAccessorINS5_14TensorAccessorIN3c108ArrayRefIlEEKT_Lm4ENS4_16DefaultPtrTraitsEiEENS_6detail16IndexBoundsCheckILm5EiEESC_Lm5ESD_iEENS6_INS7_ISA_SB_Lm4ESD_iEESH_SB_Lm5ESD_iEESI_iiiiiiiii
; %bb.0:
	s_load_dwordx4 s[12:15], s[0:1], 0x38
	s_load_dwordx2 s[28:29], s[0:1], 0x48
	s_load_dword s4, s[0:1], 0xc4
	v_mov_b32_e32 v3, s2
	v_mov_b32_e32 v1, 0
	s_waitcnt lgkmcnt(0)
	s_abs_i32 s33, s13
	v_cvt_f32_u32_e32 v2, s33
	s_add_u32 s2, s0, 0xb8
	s_mul_i32 s30, s29, s12
	s_addc_u32 s3, s1, 0
	v_rcp_iflag_f32_e32 v2, v2
	s_and_b32 s4, s4, 0xffff
	s_ashr_i32 s31, s30, 31
	v_mad_u64_u32 v[6:7], s[6:7], s4, v3, v[0:1]
	v_mul_f32_e32 v2, 0x4f7ffffe, v2
	v_cvt_u32_f32_e32 v2, v2
	v_cmp_gt_i64_e32 vcc, s[30:31], v[6:7]
	v_readfirstlane_b32 s5, v2
	s_and_saveexec_b64 s[6:7], vcc
	s_cbranch_execz .LBB14_62
; %bb.1:
	s_load_dwordx4 s[16:19], s[0:1], 0xc
	s_load_dwordx2 s[6:7], s[0:1], 0x0
	s_sub_i32 s8, 0, s33
                                        ; implicit-def: $vgpr127 : SGPR spill to VGPR lane
	s_mul_i32 s9, s8, s5
	s_mul_hi_u32 s9, s5, s9
	s_add_i32 s5, s5, s9
	s_waitcnt lgkmcnt(0)
	v_writelane_b32 v127, s6, 0
	s_ashr_i32 s12, s13, 31
                                        ; kill: killed $sgpr2 killed $sgpr3
	s_load_dwordx2 s[38:39], s[0:1], 0xac
	v_writelane_b32 v127, s7, 1
	s_abs_i32 s7, s16
	s_mul_hi_u32 s5, s7, s5
	s_mul_i32 s9, s5, s33
	s_ashr_i32 s6, s16, 31
	s_sub_i32 s7, s7, s9
	s_xor_b32 s6, s6, s12
	s_add_i32 s9, s5, 1
	s_sub_i32 s10, s7, s33
	s_cmp_ge_u32 s7, s33
	s_cselect_b32 s5, s9, s5
	s_cselect_b32 s7, s10, s7
	s_add_i32 s9, s5, 1
	s_cmp_ge_u32 s7, s33
	s_cselect_b32 s5, s9, s5
	s_xor_b32 s5, s5, s6
	s_sub_i32 s16, s5, s6
	s_cmp_gt_i32 s16, 0
	s_load_dword s5, s[2:3], 0x0
	s_load_dwordx4 s[20:23], s[0:1], 0x9c
	s_load_dword s6, s[0:1], 0x7c
	s_cselect_b64 s[2:3], -1, 0
	s_abs_i32 s97, s28
	v_cvt_f32_u32_e32 v0, s97
	s_load_dwordx4 s[24:27], s[0:1], 0x50
	s_waitcnt lgkmcnt(0)
	v_writelane_b32 v127, s6, 2
	s_load_dwordx2 s[6:7], s[0:1], 0x60
	v_rcp_iflag_f32_e32 v0, v0
	s_load_dwordx2 s[40:41], s[0:1], 0x1c
	s_load_dwordx2 s[42:43], s[0:1], 0x30
                                        ; kill: killed $sgpr0 killed $sgpr1
	s_lshl_b32 s0, s39, 1
	s_abs_i32 s96, s15
	v_mul_f32_e32 v0, 0x4f7ffffe, v0
	v_cvt_u32_f32_e32 v0, v0
	s_waitcnt lgkmcnt(0)
	v_writelane_b32 v127, s6, 3
	v_cvt_f32_u32_e32 v1, s96
	s_abs_i32 s44, s14
	v_writelane_b32 v127, s7, 4
	v_writelane_b32 v127, s0, 5
	s_sub_i32 s0, 0, s97
	v_mul_lo_u32 v3, s0, v0
	v_mul_hi_u32 v3, v0, v3
	v_add_u32_e32 v0, v0, v3
	scratch_store_dword off, v0, off offset:228 ; 4-byte Folded Spill
	v_cvt_f32_u32_e32 v0, s44
	v_rcp_iflag_f32_e32 v1, v1
	s_sub_i32 s0, 0, s96
	s_mov_b32 s35, 0
	v_rcp_iflag_f32_e32 v0, v0
	v_mul_f32_e32 v1, 0x4f7ffffe, v1
	v_cvt_u32_f32_e32 v1, v1
	s_mul_i32 s34, s5, s4
	v_mul_f32_e32 v0, 0x4f7ffffe, v0
	v_cvt_u32_f32_e32 v0, v0
	v_mul_lo_u32 v3, s0, v1
	v_mul_hi_u32 v3, v1, v3
	v_add_u32_e32 v1, v1, v3
	s_sub_i32 s0, 0, s44
	scratch_store_dword off, v1, off offset:216 ; 4-byte Folded Spill
	v_mul_lo_u32 v1, s0, v0
	v_mul_hi_u32 v1, v0, v1
	v_add_u32_e32 v0, v0, v1
	scratch_store_dword off, v0, off offset:220 ; 4-byte Folded Spill
	v_mul_lo_u32 v0, s8, v2
	v_mul_hi_u32 v0, v2, v0
	v_add_u32_e32 v0, v2, v0
	scratch_store_dword off, v0, off offset:224 ; 4-byte Folded Spill
	v_cndmask_b32_e64 v0, 0, 1, s[2:3]
	s_lshl_b32 s99, s38, 1
	s_lshl_b32 s36, s23, 1
	s_ashr_i32 s37, s28, 31
	s_ashr_i32 s45, s15, 31
	s_ashr_i32 s98, s14, 31
	s_mov_b64 s[46:47], 0
	v_cmp_ne_u32_e64 s[0:1], 1, v0
	s_branch .LBB14_4
.LBB14_2:                               ;   in Loop: Header=BB14_4 Depth=1
	s_or_b64 exec, exec, s[92:93]
	scratch_load_dwordx2 v[6:7], off, off offset:192 ; 8-byte Folded Reload
	scratch_load_dword v5, off, off offset:208 ; 4-byte Folded Reload
	scratch_load_dword v8, off, off offset:200 ; 4-byte Folded Reload
	;; [unrolled: 1-line block ×4, first 2 shown]
	v_mov_b32_e32 v27, v49
.LBB14_3:                               ;   in Loop: Header=BB14_4 Depth=1
	s_waitcnt vmcnt(0)
	v_mul_lo_u32 v0, v28, s29
	v_ashrrev_i32_e32 v1, 31, v0
	v_mul_lo_u32 v2, s24, v27
	v_lshl_add_u64 v[0:1], v[0:1], 3, s[42:43]
	v_ashrrev_i32_e32 v3, 31, v2
	v_lshl_add_u64 v[0:1], v[2:3], 3, v[0:1]
	v_mul_lo_u32 v2, s25, v9
	v_ashrrev_i32_e32 v3, 31, v2
	v_lshl_add_u64 v[0:1], v[2:3], 3, v[0:1]
	v_mul_lo_u32 v2, s26, v8
	;; [unrolled: 3-line block ×3, first 2 shown]
	v_lshl_add_u64 v[6:7], v[6:7], 0, s[34:35]
	v_ashrrev_i32_e32 v3, 31, v2
	v_cmp_le_i64_e32 vcc, s[30:31], v[6:7]
	v_lshl_add_u64 v[0:1], v[2:3], 3, v[0:1]
	s_or_b64 s[46:47], vcc, s[46:47]
	global_store_dwordx2 v[0:1], v[54:55], off
	s_andn2_b64 exec, exec, s[46:47]
	s_cbranch_execz .LBB14_62
.LBB14_4:                               ; =>This Loop Header: Depth=1
                                        ;     Child Loop BB14_7 Depth 2
	scratch_load_dword v2, off, off offset:228 ; 4-byte Folded Reload
	v_sub_u32_e32 v1, 0, v6
	v_max_i32_e32 v1, v6, v1
	v_ashrrev_i32_e32 v0, 31, v6
	v_xor_b32_e32 v0, s37, v0
	s_waitcnt vmcnt(0)
	v_mul_hi_u32 v2, v1, v2
	v_mul_lo_u32 v3, v2, s97
	v_sub_u32_e32 v1, v1, v3
	v_add_u32_e32 v3, 1, v2
	v_cmp_le_u32_e32 vcc, s97, v1
	s_nop 1
	v_cndmask_b32_e32 v2, v2, v3, vcc
	v_subrev_u32_e32 v3, s97, v1
	v_cndmask_b32_e32 v1, v1, v3, vcc
	v_add_u32_e32 v3, 1, v2
	v_cmp_le_u32_e32 vcc, s97, v1
	s_nop 1
	v_cndmask_b32_e32 v1, v2, v3, vcc
	scratch_load_dword v3, off, off offset:216 ; 4-byte Folded Reload
	v_xor_b32_e32 v1, v1, v0
	v_sub_u32_e32 v0, v1, v0
	v_sub_u32_e32 v2, 0, v0
	v_max_i32_e32 v2, v0, v2
	v_mul_lo_u32 v1, v0, s28
	v_sub_u32_e32 v5, v6, v1
	v_ashrrev_i32_e32 v1, 31, v0
	v_xor_b32_e32 v1, s45, v1
	s_waitcnt vmcnt(0)
	v_mul_hi_u32 v3, v2, v3
	v_mul_lo_u32 v4, v3, s96
	v_sub_u32_e32 v2, v2, v4
	v_add_u32_e32 v4, 1, v3
	v_cmp_le_u32_e32 vcc, s96, v2
	s_nop 1
	v_cndmask_b32_e32 v3, v3, v4, vcc
	v_subrev_u32_e32 v4, s96, v2
	v_cndmask_b32_e32 v2, v2, v4, vcc
	v_add_u32_e32 v4, 1, v3
	v_cmp_le_u32_e32 vcc, s96, v2
	s_nop 1
	v_cndmask_b32_e32 v2, v3, v4, vcc
	scratch_load_dword v3, off, off offset:220 ; 4-byte Folded Reload
	v_xor_b32_e32 v2, v2, v1
	v_sub_u32_e32 v1, v2, v1
	v_mul_lo_u32 v2, v1, s15
	v_sub_u32_e32 v8, v0, v2
	v_sub_u32_e32 v2, 0, v1
	v_max_i32_e32 v2, v1, v2
	v_ashrrev_i32_e32 v0, 31, v1
	v_xor_b32_e32 v0, s98, v0
	s_waitcnt vmcnt(0)
	v_mul_hi_u32 v3, v2, v3
	v_mul_lo_u32 v4, v3, s44
	v_sub_u32_e32 v2, v2, v4
	v_add_u32_e32 v4, 1, v3
	v_cmp_le_u32_e32 vcc, s44, v2
	s_nop 1
	v_cndmask_b32_e32 v3, v3, v4, vcc
	v_subrev_u32_e32 v4, s44, v2
	v_cndmask_b32_e32 v2, v2, v4, vcc
	v_add_u32_e32 v4, 1, v3
	v_cmp_le_u32_e32 vcc, s44, v2
	s_nop 1
	v_cndmask_b32_e32 v2, v3, v4, vcc
	scratch_load_dword v3, off, off offset:224 ; 4-byte Folded Reload
	v_xor_b32_e32 v2, v2, v0
	v_sub_u32_e32 v0, v2, v0
	v_mul_lo_u32 v2, v0, s14
	v_sub_u32_e32 v9, v1, v2
	v_sub_u32_e32 v2, 0, v0
	v_max_i32_e32 v2, v0, v2
	v_ashrrev_i32_e32 v1, 31, v0
	v_xor_b32_e32 v1, s12, v1
	s_waitcnt vmcnt(0)
	v_mul_hi_u32 v3, v2, v3
	v_mul_lo_u32 v4, v3, s33
	v_sub_u32_e32 v2, v2, v4
	v_add_u32_e32 v4, 1, v3
	v_cmp_le_u32_e32 vcc, s33, v2
	s_nop 1
	v_cndmask_b32_e32 v3, v3, v4, vcc
	v_subrev_u32_e32 v4, s33, v2
	v_cndmask_b32_e32 v2, v2, v4, vcc
	v_add_u32_e32 v4, 1, v3
	v_cmp_le_u32_e32 vcc, s33, v2
	s_nop 1
	v_cndmask_b32_e32 v2, v3, v4, vcc
	v_xor_b32_e32 v2, v2, v1
	v_sub_u32_e32 v28, v2, v1
	v_mul_lo_u32 v1, v28, s13
	s_and_b64 vcc, exec, s[0:1]
	v_sub_u32_e32 v27, v0, v1
	s_cbranch_vccnz .LBB14_61
; %bb.5:                                ;   in Loop: Header=BB14_4 Depth=1
	v_add_u32_e32 v3, s21, v8
	v_add_u32_e32 v0, s22, v5
	scratch_store_dwordx2 off, v[6:7], off offset:192 ; 8-byte Folded Spill
	scratch_store_dword off, v9, off offset:204 ; 4-byte Folded Spill
	v_add_u32_e32 v6, s20, v9
	v_or_b32_e32 v10, v0, v3
	v_or_b32_e32 v1, v10, v6
	v_cmp_gt_i32_e64 s[2:3], s18, v3
	v_cmp_lt_i32_e64 s[4:5], -1, v1
	v_cmp_gt_i32_e64 s[6:7], s19, v0
	v_subrev_u32_e32 v1, s39, v0
	s_and_b64 s[76:77], s[6:7], s[2:3]
	v_or_b32_e32 v14, v1, v3
	v_cmp_gt_i32_e32 vcc, s17, v6
	s_and_b64 s[4:5], s[76:77], s[4:5]
	v_or_b32_e32 v2, v14, v6
	v_cmp_gt_i32_e64 s[8:9], s19, v1
	s_and_b64 s[48:49], s[4:5], vcc
	v_cmp_lt_i32_e64 s[4:5], -1, v2
	s_and_b64 s[78:79], s[8:9], s[2:3]
	s_and_b64 s[4:5], s[78:79], s[4:5]
	s_and_b64 s[50:51], s[4:5], vcc
	v_readlane_b32 s4, v127, 5
	scratch_store_dword off, v5, off offset:208 ; 4-byte Folded Spill
	v_subrev_u32_e32 v5, s38, v3
	v_subrev_u32_e32 v2, s4, v0
	v_or_b32_e32 v18, v2, v3
	v_or_b32_e32 v20, v18, v6
	v_cmp_gt_i32_e64 s[10:11], s19, v2
	v_cmp_lt_i32_e64 s[4:5], -1, v20
	s_and_b64 s[80:81], s[10:11], s[2:3]
	v_or_b32_e32 v9, v0, v5
	s_and_b64 s[2:3], s[80:81], s[4:5]
	s_and_b64 s[52:53], s[2:3], vcc
	v_cmp_gt_i32_e64 s[2:3], s18, v5
	v_or_b32_e32 v21, v9, v6
	v_or_b32_e32 v13, v1, v5
	v_cmp_lt_i32_e64 s[4:5], -1, v21
	s_and_b64 s[82:83], s[6:7], s[2:3]
	s_and_b64 s[4:5], s[82:83], s[4:5]
	v_or_b32_e32 v22, v13, v6
	v_or_b32_e32 v17, v2, v5
	s_and_b64 s[54:55], s[4:5], vcc
	v_cmp_lt_i32_e64 s[4:5], -1, v22
	s_and_b64 s[84:85], s[8:9], s[2:3]
	s_and_b64 s[4:5], s[84:85], s[4:5]
	v_or_b32_e32 v23, v17, v6
	v_subrev_u32_e32 v4, s99, v3
	s_and_b64 s[56:57], s[4:5], vcc
	v_cmp_lt_i32_e64 s[4:5], -1, v23
	s_and_b64 s[86:87], s[10:11], s[2:3]
	scratch_store_dword off, v8, off offset:200 ; 4-byte Folded Spill
	v_or_b32_e32 v8, v0, v4
	s_and_b64 s[2:3], s[86:87], s[4:5]
	s_and_b64 s[58:59], s[2:3], vcc
	v_cmp_gt_i32_e64 s[2:3], s18, v4
	v_or_b32_e32 v24, v8, v6
	v_or_b32_e32 v12, v1, v4
	v_cmp_lt_i32_e64 s[4:5], -1, v24
	s_and_b64 s[88:89], s[6:7], s[2:3]
	s_and_b64 s[4:5], s[88:89], s[4:5]
	v_or_b32_e32 v25, v12, v6
	v_or_b32_e32 v16, v2, v4
	s_and_b64 s[6:7], s[4:5], vcc
	v_cmp_lt_i32_e64 s[4:5], -1, v25
	s_and_b64 s[90:91], s[8:9], s[2:3]
	s_and_b64 s[4:5], s[90:91], s[4:5]
	v_or_b32_e32 v26, v16, v6
	v_subrev_u32_e32 v7, s23, v6
	s_and_b64 s[8:9], s[4:5], vcc
	v_cmp_lt_i32_e64 s[4:5], -1, v26
	s_and_b64 s[92:93], s[10:11], s[2:3]
	v_or_b32_e32 v11, v10, v7
	s_and_b64 s[2:3], s[92:93], s[4:5]
	s_and_b64 s[4:5], s[2:3], vcc
	v_cmp_lt_i32_e64 s[2:3], -1, v11
	v_or_b32_e32 v15, v14, v7
	v_cmp_gt_i32_e32 vcc, s17, v7
	s_and_b64 s[2:3], s[76:77], s[2:3]
	s_and_b64 s[10:11], s[2:3], vcc
	v_cmp_lt_i32_e64 s[2:3], -1, v15
	v_or_b32_e32 v19, v18, v7
	s_and_b64 s[2:3], s[78:79], s[2:3]
	s_and_b64 s[60:61], s[2:3], vcc
	v_cmp_lt_i32_e64 s[2:3], -1, v19
	v_or_b32_e32 v20, v9, v7
	;; [unrolled: 4-line block ×7, first 2 shown]
	s_and_b64 s[2:3], s[90:91], s[2:3]
	s_and_b64 s[72:73], s[2:3], vcc
	v_cmp_lt_i32_e64 s[2:3], -1, v25
	v_subrev_u32_e32 v11, s36, v6
	s_and_b64 s[2:3], s[92:93], s[2:3]
	v_or_b32_e32 v10, v10, v11
	s_and_b64 s[74:75], s[2:3], vcc
	v_cmp_lt_i32_e32 vcc, -1, v10
	v_or_b32_e32 v10, v14, v11
	s_and_b64 s[76:77], s[76:77], vcc
	v_cmp_lt_i32_e32 vcc, -1, v10
	;; [unrolled: 3-line block ×5, first 2 shown]
	v_or_b32_e32 v9, v17, v11
	v_mul_lo_u32 v6, v6, s18
	s_and_b64 s[84:85], s[84:85], vcc
	v_cmp_lt_i32_e32 vcc, -1, v9
	v_add_u32_e32 v9, v3, v6
	v_or_b32_e32 v8, v8, v11
	v_mul_lo_u32 v9, v9, s19
	s_and_b64 s[86:87], s[86:87], vcc
	v_cmp_lt_i32_e32 vcc, -1, v8
	v_or_b32_e32 v8, v12, v11
	v_add_u32_e32 v12, v0, v9
	v_add_u32_e32 v14, v1, v9
	v_add_u32_e32 v18, v2, v9
	v_add_u32_e32 v9, v5, v6
	v_add_u32_e32 v6, v4, v6
	v_mul_lo_u32 v9, v9, s19
	v_mul_lo_u32 v6, v6, s19
	scratch_store_dword off, v28, off offset:212 ; 4-byte Folded Spill
	v_mul_lo_u32 v10, s40, v28
	v_add_u32_e32 v20, v0, v9
	v_add_u32_e32 v22, v1, v9
	v_add_u32_e32 v24, v2, v9
	v_add_u32_e32 v28, v0, v6
	v_add_u32_e32 v30, v1, v6
	v_or_b32_e32 v9, v16, v11
	v_add_u32_e32 v16, v2, v6
	v_mul_lo_u32 v6, v7, s18
	v_add_u32_e32 v7, v3, v6
	v_mul_lo_u32 v7, v7, s19
	v_add_u32_e32 v32, v0, v7
	v_add_u32_e32 v34, v1, v7
	;; [unrolled: 1-line block ×4, first 2 shown]
	v_mul_lo_u32 v7, v7, s19
	v_mul_lo_u32 v126, v27, s16
	v_readlane_b32 s2, v127, 2
	v_add_u32_e32 v38, v0, v7
	v_add_u32_e32 v40, v1, v7
	;; [unrolled: 1-line block ×3, first 2 shown]
	v_mul_lo_u32 v7, v11, s18
	s_and_b64 s[88:89], s[88:89], vcc
	v_cmp_lt_i32_e32 vcc, -1, v8
	v_mul_lo_u32 v8, s2, v126
	v_add_u32_e32 v5, v5, v7
	v_readlane_b32 s94, v127, 3
	v_add_u32_e32 v6, v4, v6
	v_add_u32_e32 v3, v3, v7
	v_mul_lo_u32 v5, v5, s19
	v_add_u32_e32 v4, v4, v7
	v_cmp_lt_i32_e64 s[2:3], -1, v9
	v_ashrrev_i32_e32 v9, 31, v8
	v_readlane_b32 s95, v127, 4
	v_mul_lo_u32 v3, v3, s19
	v_add_u32_e32 v58, v0, v5
	v_mul_lo_u32 v4, v4, s19
	v_add_u32_e32 v60, v2, v5
	v_lshl_add_u64 v[50:51], v[8:9], 3, s[94:95]
	v_readlane_b32 s94, v127, 0
	s_and_b64 s[90:91], s[90:91], vcc
	v_mul_lo_u32 v6, v6, s19
	v_add_u32_e32 v48, v1, v3
	v_add_u32_e32 v54, v2, v3
	;; [unrolled: 1-line block ×3, first 2 shown]
	v_cmp_gt_i32_e32 vcc, s17, v11
	v_ashrrev_i32_e32 v11, 31, v10
	v_readlane_b32 s95, v127, 1
	v_ashrrev_i32_e32 v59, 31, v58
	v_ashrrev_i32_e32 v61, 31, v60
	v_add_u32_e32 v44, v0, v6
	v_add_u32_e32 v46, v1, v6
	;; [unrolled: 1-line block ×4, first 2 shown]
	v_lshl_add_u64 v[52:53], v[10:11], 3, s[94:95]
	v_add_u32_e32 v56, v0, v3
	v_ashrrev_i32_e32 v49, 31, v48
	v_ashrrev_i32_e32 v55, 31, v54
	scratch_store_dwordx2 off, v[58:59], off offset:152 ; 8-byte Folded Spill
	v_add_u32_e32 v58, v1, v5
	scratch_store_dwordx2 off, v[60:61], off offset:160 ; 8-byte Folded Spill
	v_ashrrev_i32_e32 v63, 31, v62
	s_and_b64 s[2:3], s[92:93], s[2:3]
	v_add_u32_e32 v60, v2, v4
	s_mul_i32 s94, s41, s16
	v_ashrrev_i32_e32 v13, 31, v12
	v_ashrrev_i32_e32 v15, 31, v14
	;; [unrolled: 1-line block ×18, first 2 shown]
	s_and_b64 s[76:77], s[76:77], vcc
	v_ashrrev_i32_e32 v57, 31, v56
	s_and_b64 s[78:79], s[78:79], vcc
	scratch_store_dwordx2 off, v[48:49], off offset:136 ; 8-byte Folded Spill
	s_and_b64 s[80:81], s[80:81], vcc
	scratch_store_dwordx2 off, v[54:55], off offset:144 ; 8-byte Folded Spill
	s_and_b64 s[82:83], s[82:83], vcc
	s_and_b64 s[84:85], s[84:85], vcc
	v_ashrrev_i32_e32 v59, 31, v58
	s_and_b64 s[86:87], s[86:87], vcc
	s_and_b64 s[88:89], s[88:89], vcc
	scratch_store_dwordx2 off, v[62:63], off offset:168 ; 8-byte Folded Spill
	s_and_b64 s[90:91], s[90:91], vcc
	v_ashrrev_i32_e32 v65, 31, v64
	s_and_b64 s[2:3], s[2:3], vcc
	v_ashrrev_i32_e32 v61, 31, v60
	s_mov_b64 s[92:93], 0
	v_add_u32_e32 v48, s16, v126
	v_mov_b32_e32 v49, v27
	v_mul_lo_u32 v62, s94, v27
	v_mov_b64_e32 v[54:55], 0
	scratch_store_dwordx2 off, v[12:13], off ; 8-byte Folded Spill
	scratch_store_dwordx2 off, v[14:15], off offset:8 ; 8-byte Folded Spill
	scratch_store_dwordx2 off, v[18:19], off offset:16 ; 8-byte Folded Spill
	;; [unrolled: 1-line block ×18, first 2 shown]
	s_branch .LBB14_7
.LBB14_6:                               ;   in Loop: Header=BB14_7 Depth=2
	s_or_b64 exec, exec, s[94:95]
	s_waitcnt vmcnt(26)
	v_fmac_f64_e32 v[54:55], v[64:65], v[66:67]
	s_waitcnt vmcnt(25)
	v_fmac_f64_e32 v[54:55], v[70:71], v[74:75]
	;; [unrolled: 2-line block ×25, first 2 shown]
	v_add_u32_e32 v126, 1, v126
	s_waitcnt vmcnt(1)
	v_fmac_f64_e32 v[54:55], v[40:41], v[44:45]
	s_mov_b64 s[94:95], 0xd8
	v_cmp_ge_i32_e32 vcc, v126, v48
	s_waitcnt vmcnt(0)
	v_fmac_f64_e32 v[54:55], v[46:47], v[42:43]
	v_lshl_add_u64 v[50:51], v[50:51], 0, s[94:95]
	s_or_b64 s[92:93], vcc, s[92:93]
	v_add_u32_e32 v62, s41, v62
	s_andn2_b64 exec, exec, s[92:93]
	s_cbranch_execz .LBB14_2
.LBB14_7:                               ;   Parent Loop BB14_4 Depth=1
                                        ; =>  This Inner Loop Header: Depth=2
	global_load_dwordx2 v[64:65], v[50:51], off
	v_ashrrev_i32_e32 v63, 31, v62
	v_lshl_add_u64 v[68:69], v[62:63], 3, v[52:53]
	v_mov_b64_e32 v[66:67], 0
	s_and_saveexec_b64 s[94:95], s[48:49]
	s_cbranch_execz .LBB14_9
; %bb.8:                                ;   in Loop: Header=BB14_7 Depth=2
	scratch_load_dwordx2 v[0:1], off, off   ; 8-byte Folded Reload
	s_waitcnt vmcnt(0)
	v_lshl_add_u64 v[0:1], v[0:1], 3, v[68:69]
	global_load_dwordx2 v[66:67], v[0:1], off
.LBB14_9:                               ;   in Loop: Header=BB14_7 Depth=2
	s_or_b64 exec, exec, s[94:95]
	global_load_dwordx2 v[70:71], v[50:51], off offset:8
	v_mov_b64_e32 v[72:73], 0
	v_mov_b64_e32 v[74:75], 0
	s_and_saveexec_b64 s[94:95], s[50:51]
	s_cbranch_execz .LBB14_11
; %bb.10:                               ;   in Loop: Header=BB14_7 Depth=2
	scratch_load_dwordx2 v[0:1], off, off offset:8 ; 8-byte Folded Reload
	s_waitcnt vmcnt(0)
	v_lshl_add_u64 v[0:1], v[0:1], 3, v[68:69]
	global_load_dwordx2 v[74:75], v[0:1], off
.LBB14_11:                              ;   in Loop: Header=BB14_7 Depth=2
	s_or_b64 exec, exec, s[94:95]
	global_load_dwordx2 v[76:77], v[50:51], off offset:16
	s_and_saveexec_b64 s[94:95], s[52:53]
	s_cbranch_execz .LBB14_13
; %bb.12:                               ;   in Loop: Header=BB14_7 Depth=2
	scratch_load_dwordx2 v[0:1], off, off offset:16 ; 8-byte Folded Reload
	s_waitcnt vmcnt(0)
	v_lshl_add_u64 v[0:1], v[0:1], 3, v[68:69]
	global_load_dwordx2 v[72:73], v[0:1], off
.LBB14_13:                              ;   in Loop: Header=BB14_7 Depth=2
	s_or_b64 exec, exec, s[94:95]
	global_load_dwordx2 v[78:79], v[50:51], off offset:24
	v_mov_b64_e32 v[80:81], 0
	v_mov_b64_e32 v[82:83], 0
	s_and_saveexec_b64 s[94:95], s[54:55]
	s_cbranch_execz .LBB14_15
; %bb.14:                               ;   in Loop: Header=BB14_7 Depth=2
	scratch_load_dwordx2 v[0:1], off, off offset:24 ; 8-byte Folded Reload
	s_waitcnt vmcnt(0)
	v_lshl_add_u64 v[0:1], v[0:1], 3, v[68:69]
	global_load_dwordx2 v[82:83], v[0:1], off
.LBB14_15:                              ;   in Loop: Header=BB14_7 Depth=2
	s_or_b64 exec, exec, s[94:95]
	global_load_dwordx2 v[84:85], v[50:51], off offset:32
	s_and_saveexec_b64 s[94:95], s[56:57]
	s_cbranch_execz .LBB14_17
; %bb.16:                               ;   in Loop: Header=BB14_7 Depth=2
	scratch_load_dwordx2 v[0:1], off, off offset:32 ; 8-byte Folded Reload
	s_waitcnt vmcnt(0)
	v_lshl_add_u64 v[0:1], v[0:1], 3, v[68:69]
	global_load_dwordx2 v[80:81], v[0:1], off
.LBB14_17:                              ;   in Loop: Header=BB14_7 Depth=2
	;; [unrolled: 22-line block ×8, first 2 shown]
	s_or_b64 exec, exec, s[94:95]
	global_load_dwordx2 v[8:9], v[50:51], off offset:136
	v_mov_b64_e32 v[10:11], 0
	v_mov_b64_e32 v[12:13], 0
	s_and_saveexec_b64 s[94:95], s[74:75]
	s_cbranch_execz .LBB14_43
; %bb.42:                               ;   in Loop: Header=BB14_7 Depth=2
	scratch_load_dwordx2 v[12:13], off, off offset:176 ; 8-byte Folded Reload
	s_waitcnt vmcnt(0)
	v_lshl_add_u64 v[12:13], v[12:13], 3, v[68:69]
	global_load_dwordx2 v[12:13], v[12:13], off
.LBB14_43:                              ;   in Loop: Header=BB14_7 Depth=2
	s_or_b64 exec, exec, s[94:95]
	global_load_dwordx2 v[14:15], v[50:51], off offset:144
	s_and_saveexec_b64 s[94:95], s[76:77]
	s_cbranch_execz .LBB14_45
; %bb.44:                               ;   in Loop: Header=BB14_7 Depth=2
	v_lshl_add_u64 v[10:11], v[56:57], 3, v[68:69]
	global_load_dwordx2 v[10:11], v[10:11], off
.LBB14_45:                              ;   in Loop: Header=BB14_7 Depth=2
	s_or_b64 exec, exec, s[94:95]
	global_load_dwordx2 v[16:17], v[50:51], off offset:152
	v_mov_b64_e32 v[18:19], 0
	v_mov_b64_e32 v[20:21], 0
	s_and_saveexec_b64 s[94:95], s[78:79]
	s_cbranch_execz .LBB14_47
; %bb.46:                               ;   in Loop: Header=BB14_7 Depth=2
	scratch_load_dwordx2 v[20:21], off, off offset:136 ; 8-byte Folded Reload
	s_waitcnt vmcnt(0)
	v_lshl_add_u64 v[20:21], v[20:21], 3, v[68:69]
	global_load_dwordx2 v[20:21], v[20:21], off
.LBB14_47:                              ;   in Loop: Header=BB14_7 Depth=2
	s_or_b64 exec, exec, s[94:95]
	global_load_dwordx2 v[22:23], v[50:51], off offset:160
	s_and_saveexec_b64 s[94:95], s[80:81]
	s_cbranch_execz .LBB14_49
; %bb.48:                               ;   in Loop: Header=BB14_7 Depth=2
	scratch_load_dwordx2 v[18:19], off, off offset:144 ; 8-byte Folded Reload
	s_waitcnt vmcnt(0)
	v_lshl_add_u64 v[18:19], v[18:19], 3, v[68:69]
	global_load_dwordx2 v[18:19], v[18:19], off
.LBB14_49:                              ;   in Loop: Header=BB14_7 Depth=2
	s_or_b64 exec, exec, s[94:95]
	global_load_dwordx2 v[24:25], v[50:51], off offset:168
	v_mov_b64_e32 v[26:27], 0
	v_mov_b64_e32 v[28:29], 0
	s_and_saveexec_b64 s[94:95], s[82:83]
	s_cbranch_execz .LBB14_51
; %bb.50:                               ;   in Loop: Header=BB14_7 Depth=2
	scratch_load_dwordx2 v[28:29], off, off offset:152 ; 8-byte Folded Reload
	s_waitcnt vmcnt(0)
	v_lshl_add_u64 v[28:29], v[28:29], 3, v[68:69]
	global_load_dwordx2 v[28:29], v[28:29], off
.LBB14_51:                              ;   in Loop: Header=BB14_7 Depth=2
	s_or_b64 exec, exec, s[94:95]
	global_load_dwordx2 v[30:31], v[50:51], off offset:176
	s_and_saveexec_b64 s[94:95], s[84:85]
	s_cbranch_execz .LBB14_53
; %bb.52:                               ;   in Loop: Header=BB14_7 Depth=2
	v_lshl_add_u64 v[26:27], v[58:59], 3, v[68:69]
	global_load_dwordx2 v[26:27], v[26:27], off
.LBB14_53:                              ;   in Loop: Header=BB14_7 Depth=2
	s_or_b64 exec, exec, s[94:95]
	global_load_dwordx2 v[32:33], v[50:51], off offset:184
	v_mov_b64_e32 v[34:35], 0
	v_mov_b64_e32 v[36:37], 0
	s_and_saveexec_b64 s[94:95], s[86:87]
	s_cbranch_execz .LBB14_55
; %bb.54:                               ;   in Loop: Header=BB14_7 Depth=2
	scratch_load_dwordx2 v[36:37], off, off offset:160 ; 8-byte Folded Reload
	s_waitcnt vmcnt(0)
	v_lshl_add_u64 v[36:37], v[36:37], 3, v[68:69]
	global_load_dwordx2 v[36:37], v[36:37], off
.LBB14_55:                              ;   in Loop: Header=BB14_7 Depth=2
	s_or_b64 exec, exec, s[94:95]
	global_load_dwordx2 v[38:39], v[50:51], off offset:192
	s_and_saveexec_b64 s[94:95], s[88:89]
	s_cbranch_execz .LBB14_57
; %bb.56:                               ;   in Loop: Header=BB14_7 Depth=2
	scratch_load_dwordx2 v[34:35], off, off offset:168 ; 8-byte Folded Reload
	s_waitcnt vmcnt(0)
	v_lshl_add_u64 v[34:35], v[34:35], 3, v[68:69]
	global_load_dwordx2 v[34:35], v[34:35], off
.LBB14_57:                              ;   in Loop: Header=BB14_7 Depth=2
	s_or_b64 exec, exec, s[94:95]
	global_load_dwordx2 v[40:41], v[50:51], off offset:200
	v_mov_b64_e32 v[42:43], 0
	v_mov_b64_e32 v[44:45], 0
	s_and_saveexec_b64 s[94:95], s[90:91]
	s_cbranch_execz .LBB14_59
; %bb.58:                               ;   in Loop: Header=BB14_7 Depth=2
	scratch_load_dwordx2 v[44:45], off, off offset:184 ; 8-byte Folded Reload
	s_waitcnt vmcnt(0)
	v_lshl_add_u64 v[44:45], v[44:45], 3, v[68:69]
	global_load_dwordx2 v[44:45], v[44:45], off
.LBB14_59:                              ;   in Loop: Header=BB14_7 Depth=2
	s_or_b64 exec, exec, s[94:95]
	global_load_dwordx2 v[46:47], v[50:51], off offset:208
	s_and_saveexec_b64 s[94:95], s[2:3]
	s_cbranch_execz .LBB14_6
; %bb.60:                               ;   in Loop: Header=BB14_7 Depth=2
	v_lshl_add_u64 v[42:43], v[60:61], 3, v[68:69]
	global_load_dwordx2 v[42:43], v[42:43], off
	s_branch .LBB14_6
.LBB14_61:                              ;   in Loop: Header=BB14_4 Depth=1
	v_mov_b64_e32 v[54:55], 0
	s_branch .LBB14_3
.LBB14_62:
	s_endpgm
	.section	.rodata,"a",@progbits
	.p2align	6, 0x0
	.amdhsa_kernel _ZN2at6native12_GLOBAL__N_143conv_depthwise3d_cuda_backward_input_kernelIddLi3ELi3ELi3ELin1ELin1ELin1ELi1ELi1ELi1EEEvN5torch10headeronly6detail27GenericPackedTensorAccessorINS5_14TensorAccessorIN3c108ArrayRefIlEEKT_Lm4ENS4_16DefaultPtrTraitsEiEENS_6detail16IndexBoundsCheckILm5EiEESC_Lm5ESD_iEENS6_INS7_ISA_SB_Lm4ESD_iEESH_SB_Lm5ESD_iEESI_iiiiiiiii
		.amdhsa_group_segment_fixed_size 0
		.amdhsa_private_segment_fixed_size 236
		.amdhsa_kernarg_size 440
		.amdhsa_user_sgpr_count 2
		.amdhsa_user_sgpr_dispatch_ptr 0
		.amdhsa_user_sgpr_queue_ptr 0
		.amdhsa_user_sgpr_kernarg_segment_ptr 1
		.amdhsa_user_sgpr_dispatch_id 0
		.amdhsa_user_sgpr_kernarg_preload_length 0
		.amdhsa_user_sgpr_kernarg_preload_offset 0
		.amdhsa_user_sgpr_private_segment_size 0
		.amdhsa_uses_dynamic_stack 0
		.amdhsa_enable_private_segment 1
		.amdhsa_system_sgpr_workgroup_id_x 1
		.amdhsa_system_sgpr_workgroup_id_y 0
		.amdhsa_system_sgpr_workgroup_id_z 0
		.amdhsa_system_sgpr_workgroup_info 0
		.amdhsa_system_vgpr_workitem_id 0
		.amdhsa_next_free_vgpr 128
		.amdhsa_next_free_sgpr 100
		.amdhsa_accum_offset 128
		.amdhsa_reserve_vcc 1
		.amdhsa_float_round_mode_32 0
		.amdhsa_float_round_mode_16_64 0
		.amdhsa_float_denorm_mode_32 3
		.amdhsa_float_denorm_mode_16_64 3
		.amdhsa_dx10_clamp 1
		.amdhsa_ieee_mode 1
		.amdhsa_fp16_overflow 0
		.amdhsa_tg_split 0
		.amdhsa_exception_fp_ieee_invalid_op 0
		.amdhsa_exception_fp_denorm_src 0
		.amdhsa_exception_fp_ieee_div_zero 0
		.amdhsa_exception_fp_ieee_overflow 0
		.amdhsa_exception_fp_ieee_underflow 0
		.amdhsa_exception_fp_ieee_inexact 0
		.amdhsa_exception_int_div_zero 0
	.end_amdhsa_kernel
	.section	.text._ZN2at6native12_GLOBAL__N_143conv_depthwise3d_cuda_backward_input_kernelIddLi3ELi3ELi3ELin1ELin1ELin1ELi1ELi1ELi1EEEvN5torch10headeronly6detail27GenericPackedTensorAccessorINS5_14TensorAccessorIN3c108ArrayRefIlEEKT_Lm4ENS4_16DefaultPtrTraitsEiEENS_6detail16IndexBoundsCheckILm5EiEESC_Lm5ESD_iEENS6_INS7_ISA_SB_Lm4ESD_iEESH_SB_Lm5ESD_iEESI_iiiiiiiii,"axG",@progbits,_ZN2at6native12_GLOBAL__N_143conv_depthwise3d_cuda_backward_input_kernelIddLi3ELi3ELi3ELin1ELin1ELin1ELi1ELi1ELi1EEEvN5torch10headeronly6detail27GenericPackedTensorAccessorINS5_14TensorAccessorIN3c108ArrayRefIlEEKT_Lm4ENS4_16DefaultPtrTraitsEiEENS_6detail16IndexBoundsCheckILm5EiEESC_Lm5ESD_iEENS6_INS7_ISA_SB_Lm4ESD_iEESH_SB_Lm5ESD_iEESI_iiiiiiiii,comdat
.Lfunc_end14:
	.size	_ZN2at6native12_GLOBAL__N_143conv_depthwise3d_cuda_backward_input_kernelIddLi3ELi3ELi3ELin1ELin1ELin1ELi1ELi1ELi1EEEvN5torch10headeronly6detail27GenericPackedTensorAccessorINS5_14TensorAccessorIN3c108ArrayRefIlEEKT_Lm4ENS4_16DefaultPtrTraitsEiEENS_6detail16IndexBoundsCheckILm5EiEESC_Lm5ESD_iEENS6_INS7_ISA_SB_Lm4ESD_iEESH_SB_Lm5ESD_iEESI_iiiiiiiii, .Lfunc_end14-_ZN2at6native12_GLOBAL__N_143conv_depthwise3d_cuda_backward_input_kernelIddLi3ELi3ELi3ELin1ELin1ELin1ELi1ELi1ELi1EEEvN5torch10headeronly6detail27GenericPackedTensorAccessorINS5_14TensorAccessorIN3c108ArrayRefIlEEKT_Lm4ENS4_16DefaultPtrTraitsEiEENS_6detail16IndexBoundsCheckILm5EiEESC_Lm5ESD_iEENS6_INS7_ISA_SB_Lm4ESD_iEESH_SB_Lm5ESD_iEESI_iiiiiiiii
                                        ; -- End function
	.set _ZN2at6native12_GLOBAL__N_143conv_depthwise3d_cuda_backward_input_kernelIddLi3ELi3ELi3ELin1ELin1ELin1ELi1ELi1ELi1EEEvN5torch10headeronly6detail27GenericPackedTensorAccessorINS5_14TensorAccessorIN3c108ArrayRefIlEEKT_Lm4ENS4_16DefaultPtrTraitsEiEENS_6detail16IndexBoundsCheckILm5EiEESC_Lm5ESD_iEENS6_INS7_ISA_SB_Lm4ESD_iEESH_SB_Lm5ESD_iEESI_iiiiiiiii.num_vgpr, 128
	.set _ZN2at6native12_GLOBAL__N_143conv_depthwise3d_cuda_backward_input_kernelIddLi3ELi3ELi3ELin1ELin1ELin1ELi1ELi1ELi1EEEvN5torch10headeronly6detail27GenericPackedTensorAccessorINS5_14TensorAccessorIN3c108ArrayRefIlEEKT_Lm4ENS4_16DefaultPtrTraitsEiEENS_6detail16IndexBoundsCheckILm5EiEESC_Lm5ESD_iEENS6_INS7_ISA_SB_Lm4ESD_iEESH_SB_Lm5ESD_iEESI_iiiiiiiii.num_agpr, 0
	.set _ZN2at6native12_GLOBAL__N_143conv_depthwise3d_cuda_backward_input_kernelIddLi3ELi3ELi3ELin1ELin1ELin1ELi1ELi1ELi1EEEvN5torch10headeronly6detail27GenericPackedTensorAccessorINS5_14TensorAccessorIN3c108ArrayRefIlEEKT_Lm4ENS4_16DefaultPtrTraitsEiEENS_6detail16IndexBoundsCheckILm5EiEESC_Lm5ESD_iEENS6_INS7_ISA_SB_Lm4ESD_iEESH_SB_Lm5ESD_iEESI_iiiiiiiii.numbered_sgpr, 100
	.set _ZN2at6native12_GLOBAL__N_143conv_depthwise3d_cuda_backward_input_kernelIddLi3ELi3ELi3ELin1ELin1ELin1ELi1ELi1ELi1EEEvN5torch10headeronly6detail27GenericPackedTensorAccessorINS5_14TensorAccessorIN3c108ArrayRefIlEEKT_Lm4ENS4_16DefaultPtrTraitsEiEENS_6detail16IndexBoundsCheckILm5EiEESC_Lm5ESD_iEENS6_INS7_ISA_SB_Lm4ESD_iEESH_SB_Lm5ESD_iEESI_iiiiiiiii.num_named_barrier, 0
	.set _ZN2at6native12_GLOBAL__N_143conv_depthwise3d_cuda_backward_input_kernelIddLi3ELi3ELi3ELin1ELin1ELin1ELi1ELi1ELi1EEEvN5torch10headeronly6detail27GenericPackedTensorAccessorINS5_14TensorAccessorIN3c108ArrayRefIlEEKT_Lm4ENS4_16DefaultPtrTraitsEiEENS_6detail16IndexBoundsCheckILm5EiEESC_Lm5ESD_iEENS6_INS7_ISA_SB_Lm4ESD_iEESH_SB_Lm5ESD_iEESI_iiiiiiiii.private_seg_size, 236
	.set _ZN2at6native12_GLOBAL__N_143conv_depthwise3d_cuda_backward_input_kernelIddLi3ELi3ELi3ELin1ELin1ELin1ELi1ELi1ELi1EEEvN5torch10headeronly6detail27GenericPackedTensorAccessorINS5_14TensorAccessorIN3c108ArrayRefIlEEKT_Lm4ENS4_16DefaultPtrTraitsEiEENS_6detail16IndexBoundsCheckILm5EiEESC_Lm5ESD_iEENS6_INS7_ISA_SB_Lm4ESD_iEESH_SB_Lm5ESD_iEESI_iiiiiiiii.uses_vcc, 1
	.set _ZN2at6native12_GLOBAL__N_143conv_depthwise3d_cuda_backward_input_kernelIddLi3ELi3ELi3ELin1ELin1ELin1ELi1ELi1ELi1EEEvN5torch10headeronly6detail27GenericPackedTensorAccessorINS5_14TensorAccessorIN3c108ArrayRefIlEEKT_Lm4ENS4_16DefaultPtrTraitsEiEENS_6detail16IndexBoundsCheckILm5EiEESC_Lm5ESD_iEENS6_INS7_ISA_SB_Lm4ESD_iEESH_SB_Lm5ESD_iEESI_iiiiiiiii.uses_flat_scratch, 0
	.set _ZN2at6native12_GLOBAL__N_143conv_depthwise3d_cuda_backward_input_kernelIddLi3ELi3ELi3ELin1ELin1ELin1ELi1ELi1ELi1EEEvN5torch10headeronly6detail27GenericPackedTensorAccessorINS5_14TensorAccessorIN3c108ArrayRefIlEEKT_Lm4ENS4_16DefaultPtrTraitsEiEENS_6detail16IndexBoundsCheckILm5EiEESC_Lm5ESD_iEENS6_INS7_ISA_SB_Lm4ESD_iEESH_SB_Lm5ESD_iEESI_iiiiiiiii.has_dyn_sized_stack, 0
	.set _ZN2at6native12_GLOBAL__N_143conv_depthwise3d_cuda_backward_input_kernelIddLi3ELi3ELi3ELin1ELin1ELin1ELi1ELi1ELi1EEEvN5torch10headeronly6detail27GenericPackedTensorAccessorINS5_14TensorAccessorIN3c108ArrayRefIlEEKT_Lm4ENS4_16DefaultPtrTraitsEiEENS_6detail16IndexBoundsCheckILm5EiEESC_Lm5ESD_iEENS6_INS7_ISA_SB_Lm4ESD_iEESH_SB_Lm5ESD_iEESI_iiiiiiiii.has_recursion, 0
	.set _ZN2at6native12_GLOBAL__N_143conv_depthwise3d_cuda_backward_input_kernelIddLi3ELi3ELi3ELin1ELin1ELin1ELi1ELi1ELi1EEEvN5torch10headeronly6detail27GenericPackedTensorAccessorINS5_14TensorAccessorIN3c108ArrayRefIlEEKT_Lm4ENS4_16DefaultPtrTraitsEiEENS_6detail16IndexBoundsCheckILm5EiEESC_Lm5ESD_iEENS6_INS7_ISA_SB_Lm4ESD_iEESH_SB_Lm5ESD_iEESI_iiiiiiiii.has_indirect_call, 0
	.section	.AMDGPU.csdata,"",@progbits
; Kernel info:
; codeLenInByte = 4256
; TotalNumSgprs: 106
; NumVgprs: 128
; NumAgprs: 0
; TotalNumVgprs: 128
; ScratchSize: 236
; MemoryBound: 0
; FloatMode: 240
; IeeeMode: 1
; LDSByteSize: 0 bytes/workgroup (compile time only)
; SGPRBlocks: 13
; VGPRBlocks: 15
; NumSGPRsForWavesPerEU: 106
; NumVGPRsForWavesPerEU: 128
; AccumOffset: 128
; Occupancy: 4
; WaveLimiterHint : 0
; COMPUTE_PGM_RSRC2:SCRATCH_EN: 1
; COMPUTE_PGM_RSRC2:USER_SGPR: 2
; COMPUTE_PGM_RSRC2:TRAP_HANDLER: 0
; COMPUTE_PGM_RSRC2:TGID_X_EN: 1
; COMPUTE_PGM_RSRC2:TGID_Y_EN: 0
; COMPUTE_PGM_RSRC2:TGID_Z_EN: 0
; COMPUTE_PGM_RSRC2:TIDIG_COMP_CNT: 0
; COMPUTE_PGM_RSRC3_GFX90A:ACCUM_OFFSET: 31
; COMPUTE_PGM_RSRC3_GFX90A:TG_SPLIT: 0
	.section	.text._ZN2at6native12_GLOBAL__N_143conv_depthwise3d_cuda_backward_input_kernelIddLi3ELi3ELi3ELin1ELin1ELin1ELin1ELin1ELin1EEEvN5torch10headeronly6detail27GenericPackedTensorAccessorINS5_14TensorAccessorIN3c108ArrayRefIlEEKT_Lm4ENS4_16DefaultPtrTraitsEiEENS_6detail16IndexBoundsCheckILm5EiEESC_Lm5ESD_iEENS6_INS7_ISA_SB_Lm4ESD_iEESH_SB_Lm5ESD_iEESI_iiiiiiiii,"axG",@progbits,_ZN2at6native12_GLOBAL__N_143conv_depthwise3d_cuda_backward_input_kernelIddLi3ELi3ELi3ELin1ELin1ELin1ELin1ELin1ELin1EEEvN5torch10headeronly6detail27GenericPackedTensorAccessorINS5_14TensorAccessorIN3c108ArrayRefIlEEKT_Lm4ENS4_16DefaultPtrTraitsEiEENS_6detail16IndexBoundsCheckILm5EiEESC_Lm5ESD_iEENS6_INS7_ISA_SB_Lm4ESD_iEESH_SB_Lm5ESD_iEESI_iiiiiiiii,comdat
	.globl	_ZN2at6native12_GLOBAL__N_143conv_depthwise3d_cuda_backward_input_kernelIddLi3ELi3ELi3ELin1ELin1ELin1ELin1ELin1ELin1EEEvN5torch10headeronly6detail27GenericPackedTensorAccessorINS5_14TensorAccessorIN3c108ArrayRefIlEEKT_Lm4ENS4_16DefaultPtrTraitsEiEENS_6detail16IndexBoundsCheckILm5EiEESC_Lm5ESD_iEENS6_INS7_ISA_SB_Lm4ESD_iEESH_SB_Lm5ESD_iEESI_iiiiiiiii ; -- Begin function _ZN2at6native12_GLOBAL__N_143conv_depthwise3d_cuda_backward_input_kernelIddLi3ELi3ELi3ELin1ELin1ELin1ELin1ELin1ELin1EEEvN5torch10headeronly6detail27GenericPackedTensorAccessorINS5_14TensorAccessorIN3c108ArrayRefIlEEKT_Lm4ENS4_16DefaultPtrTraitsEiEENS_6detail16IndexBoundsCheckILm5EiEESC_Lm5ESD_iEENS6_INS7_ISA_SB_Lm4ESD_iEESH_SB_Lm5ESD_iEESI_iiiiiiiii
	.p2align	8
	.type	_ZN2at6native12_GLOBAL__N_143conv_depthwise3d_cuda_backward_input_kernelIddLi3ELi3ELi3ELin1ELin1ELin1ELin1ELin1ELin1EEEvN5torch10headeronly6detail27GenericPackedTensorAccessorINS5_14TensorAccessorIN3c108ArrayRefIlEEKT_Lm4ENS4_16DefaultPtrTraitsEiEENS_6detail16IndexBoundsCheckILm5EiEESC_Lm5ESD_iEENS6_INS7_ISA_SB_Lm4ESD_iEESH_SB_Lm5ESD_iEESI_iiiiiiiii,@function
_ZN2at6native12_GLOBAL__N_143conv_depthwise3d_cuda_backward_input_kernelIddLi3ELi3ELi3ELin1ELin1ELin1ELin1ELin1ELin1EEEvN5torch10headeronly6detail27GenericPackedTensorAccessorINS5_14TensorAccessorIN3c108ArrayRefIlEEKT_Lm4ENS4_16DefaultPtrTraitsEiEENS_6detail16IndexBoundsCheckILm5EiEESC_Lm5ESD_iEENS6_INS7_ISA_SB_Lm4ESD_iEESH_SB_Lm5ESD_iEESI_iiiiiiiii: ; @_ZN2at6native12_GLOBAL__N_143conv_depthwise3d_cuda_backward_input_kernelIddLi3ELi3ELi3ELin1ELin1ELin1ELin1ELin1ELin1EEEvN5torch10headeronly6detail27GenericPackedTensorAccessorINS5_14TensorAccessorIN3c108ArrayRefIlEEKT_Lm4ENS4_16DefaultPtrTraitsEiEENS_6detail16IndexBoundsCheckILm5EiEESC_Lm5ESD_iEENS6_INS7_ISA_SB_Lm4ESD_iEESH_SB_Lm5ESD_iEESI_iiiiiiiii
; %bb.0:
	s_load_dwordx4 s[8:11], s[0:1], 0x38
	s_load_dwordx2 s[16:17], s[0:1], 0x48
	s_load_dword s4, s[0:1], 0xc4
                                        ; implicit-def: $vgpr126 : SGPR spill to VGPR lane
	v_mov_b32_e32 v3, s2
	v_mov_b32_e32 v1, 0
	s_waitcnt lgkmcnt(0)
	s_abs_i32 s3, s9
	v_cvt_f32_u32_e32 v2, s3
	v_writelane_b32 v126, s3, 0
	s_mov_b64 s[6:7], s[10:11]
	s_mov_b32 s5, s9
	v_rcp_iflag_f32_e32 v2, v2
	v_writelane_b32 v126, s4, 1
	s_mul_i32 s8, s17, s8
	s_add_u32 s2, s0, 0xb8
	v_mul_f32_e32 v2, 0x4f7ffffe, v2
	v_writelane_b32 v126, s5, 2
	v_cvt_u32_f32_e32 v2, v2
	v_writelane_b32 v126, s6, 3
	v_writelane_b32 v126, s7, 4
	s_addc_u32 s3, s1, 0
	s_and_b32 s4, s4, 0xffff
	s_ashr_i32 s9, s8, 31
	v_mad_u64_u32 v[4:5], s[6:7], s4, v3, v[0:1]
	v_writelane_b32 v126, s8, 5
	v_readfirstlane_b32 s5, v2
	s_nop 0
	v_writelane_b32 v126, s9, 6
	v_cmp_gt_i64_e32 vcc, s[8:9], v[4:5]
	s_and_saveexec_b64 s[6:7], vcc
	s_cbranch_execz .LBB15_63
; %bb.1:
	s_load_dwordx2 s[6:7], s[0:1], 0x0
	s_load_dwordx4 s[28:31], s[0:1], 0x50
	s_load_dwordx4 s[8:11], s[0:1], 0xc
	;; [unrolled: 1-line block ×3, first 2 shown]
	s_load_dwordx8 s[20:27], s[0:1], 0x90
	s_load_dword s18, s[0:1], 0xb0
                                        ; kill: killed $sgpr2 killed $sgpr3
                                        ; kill: killed $sgpr0 killed $sgpr1
	s_waitcnt lgkmcnt(0)
	v_writelane_b32 v126, s6, 7
	s_ashr_i32 s12, s13, 31
	s_nop 0
	v_writelane_b32 v126, s7, 8
	s_ashr_i32 s6, s8, 31
	v_writelane_b32 v126, s8, 9
	s_abs_i32 s7, s8
	s_xor_b32 s6, s6, s12
	v_writelane_b32 v126, s9, 10
	v_writelane_b32 v126, s10, 11
	;; [unrolled: 1-line block ×3, first 2 shown]
	s_mov_b32 s13, 0
	v_readlane_b32 s11, v126, 0
	s_sub_i32 s8, 0, s11
	s_mul_i32 s9, s8, s5
	s_mul_hi_u32 s9, s5, s9
	s_add_i32 s5, s5, s9
	s_mul_hi_u32 s5, s7, s5
	s_mul_i32 s9, s5, s11
	s_sub_i32 s7, s7, s9
	s_add_i32 s9, s5, 1
	s_sub_i32 s10, s7, s11
	s_cmp_ge_u32 s7, s11
	s_cselect_b32 s5, s9, s5
	s_cselect_b32 s7, s10, s7
	s_add_i32 s9, s5, 1
	s_cmp_ge_u32 s7, s11
	s_cselect_b32 s5, s9, s5
	s_xor_b32 s5, s5, s6
	s_sub_i32 s6, s5, s6
	s_load_dword s5, s[2:3], 0x0
	s_load_dword s7, s[0:1], 0x7c
	s_load_dwordx2 s[10:11], s[0:1], 0x1c
	v_writelane_b32 v126, s12, 13
	s_cmp_gt_i32 s6, 0
	s_cselect_b64 s[2:3], -1, 0
	s_waitcnt lgkmcnt(0)
	v_writelane_b32 v126, s7, 14
	v_writelane_b32 v126, s10, 15
	s_mul_i32 s12, s5, s4
	s_abs_i32 s33, s22
	v_writelane_b32 v126, s11, 16
	s_load_dwordx2 s[10:11], s[0:1], 0x30
	s_mov_b64 s[4:5], 0
	s_waitcnt lgkmcnt(0)
	v_writelane_b32 v126, s10, 17
	s_nop 1
	v_writelane_b32 v126, s11, 18
	v_writelane_b32 v126, s6, 19
	s_load_dwordx2 s[6:7], s[0:1], 0x60
	v_writelane_b32 v126, s2, 20
	s_lshl_b32 s0, s18, 1
	s_abs_i32 s1, s15
	v_writelane_b32 v126, s3, 21
	s_abs_i32 s2, s16
	v_cvt_f32_u32_e32 v0, s2
	s_waitcnt lgkmcnt(0)
	v_writelane_b32 v126, s6, 22
	v_cvt_f32_u32_e32 v1, s1
	v_rcp_iflag_f32_e32 v0, v0
	v_writelane_b32 v126, s7, 23
	v_writelane_b32 v126, s28, 24
	v_rcp_iflag_f32_e32 v1, v1
	v_mul_f32_e32 v0, 0x4f7ffffe, v0
	v_writelane_b32 v126, s29, 25
	v_writelane_b32 v126, s30, 26
	;; [unrolled: 1-line block ×4, first 2 shown]
	v_cvt_u32_f32_e32 v0, v0
	v_mul_f32_e32 v1, 0x4f7ffffe, v1
	v_writelane_b32 v126, s13, 29
	v_writelane_b32 v126, s18, 30
	;; [unrolled: 1-line block ×3, first 2 shown]
	s_lshl_b32 s0, s27, 1
	v_writelane_b32 v126, s0, 32
	s_lshl_b32 s0, s26, 1
	v_writelane_b32 v126, s0, 33
	s_ashr_i32 s0, s16, 31
	v_writelane_b32 v126, s0, 34
	s_sub_i32 s0, 0, s2
	v_mul_lo_u32 v3, s0, v0
	v_mul_hi_u32 v3, v0, v3
	v_writelane_b32 v126, s2, 35
	v_add_u32_e32 v0, v0, v3
	s_abs_i32 s2, s14
	scratch_store_dword off, v0, off offset:220 ; 4-byte Folded Spill
	v_cvt_f32_u32_e32 v0, s2
	v_cvt_u32_f32_e32 v1, v1
	s_ashr_i32 s0, s15, 31
	v_writelane_b32 v126, s0, 36
	v_rcp_iflag_f32_e32 v0, v0
	s_sub_i32 s0, 0, s1
	v_mul_lo_u32 v3, s0, v1
	v_writelane_b32 v126, s1, 37
	v_mul_f32_e32 v0, 0x4f7ffffe, v0
	v_cvt_u32_f32_e32 v0, v0
	v_mul_hi_u32 v3, v1, v3
	s_ashr_i32 s0, s14, 31
	v_add_u32_e32 v1, v1, v3
	v_writelane_b32 v126, s0, 38
	s_sub_i32 s0, 0, s2
	scratch_store_dword off, v1, off offset:224 ; 4-byte Folded Spill
	v_mul_lo_u32 v1, s0, v0
	s_abs_i32 s0, s20
	v_cvt_f32_u32_e32 v3, s0
	v_mul_hi_u32 v1, v0, v1
	v_add_u32_e32 v0, v0, v1
	scratch_store_dword off, v0, off offset:228 ; 4-byte Folded Spill
	v_rcp_iflag_f32_e32 v1, v3
	v_mul_lo_u32 v0, s8, v2
	v_mul_hi_u32 v0, v2, v0
	v_add_u32_e32 v0, v2, v0
	scratch_store_dword off, v0, off offset:232 ; 4-byte Folded Spill
	v_mul_f32_e32 v0, 0x4f7ffffe, v1
	v_cvt_u32_f32_e32 v0, v0
	v_writelane_b32 v126, s2, 39
	s_ashr_i32 s1, s20, 31
	v_writelane_b32 v126, s1, 40
	s_abs_i32 s1, s21
	v_writelane_b32 v126, s0, 41
	s_sub_i32 s0, 0, s0
	v_cvt_f32_u32_e32 v1, s1
	v_mul_lo_u32 v2, s0, v0
	v_mul_hi_u32 v2, v0, v2
	v_add_u32_e32 v0, v0, v2
	scratch_store_dword off, v0, off offset:236 ; 4-byte Folded Spill
	v_cvt_f32_u32_e32 v0, s33
	v_rcp_iflag_f32_e32 v1, v1
	s_ashr_i32 s0, s21, 31
	v_writelane_b32 v126, s0, 42
	v_writelane_b32 v126, s1, 43
	v_rcp_iflag_f32_e32 v0, v0
	v_writelane_b32 v126, s20, 44
	v_mul_f32_e32 v1, 0x4f7ffffe, v1
	v_cvt_u32_f32_e32 v1, v1
	v_writelane_b32 v126, s21, 45
	v_writelane_b32 v126, s22, 46
	;; [unrolled: 1-line block ×3, first 2 shown]
	v_mul_f32_e32 v0, 0x4f7ffffe, v0
	v_writelane_b32 v126, s24, 48
	s_sub_i32 s0, 0, s1
	v_cvt_u32_f32_e32 v0, v0
	v_writelane_b32 v126, s25, 49
	v_mul_lo_u32 v2, s0, v1
	v_writelane_b32 v126, s26, 50
	v_mul_hi_u32 v2, v1, v2
	v_writelane_b32 v126, s27, 51
	s_ashr_i32 s0, s22, 31
	v_add_u32_e32 v1, v1, v2
	v_writelane_b32 v126, s0, 52
	s_sub_i32 s0, 0, s33
	scratch_store_dword off, v1, off offset:240 ; 4-byte Folded Spill
	v_mul_lo_u32 v1, s0, v0
	v_mul_hi_u32 v1, v0, v1
	v_writelane_b32 v126, s16, 53
	v_add_u32_e32 v0, v0, v1
	scratch_store_dword off, v0, off offset:244 ; 4-byte Folded Spill
	v_writelane_b32 v126, s17, 54
.LBB15_2:                               ; =>This Loop Header: Depth=1
                                        ;     Child Loop BB15_5 Depth 2
	scratch_load_dword v2, off, off offset:220 ; 4-byte Folded Reload
	v_writelane_b32 v126, s4, 55
	v_sub_u32_e32 v1, 0, v4
	v_ashrrev_i32_e32 v0, 31, v4
	v_writelane_b32 v126, s5, 56
	v_max_i32_e32 v1, v4, v1
	v_readlane_b32 s0, v126, 34
	scratch_store_dwordx2 off, v[4:5], off offset:192 ; 8-byte Folded Spill
	s_waitcnt vmcnt(1)
	v_mul_hi_u32 v2, v1, v2
	v_xor_b32_e32 v0, s0, v0
	v_readlane_b32 s0, v126, 35
	s_nop 1
	v_mul_lo_u32 v3, v2, s0
	v_sub_u32_e32 v1, v1, v3
	v_add_u32_e32 v3, 1, v2
	v_cmp_le_u32_e32 vcc, s0, v1
	s_nop 1
	v_cndmask_b32_e32 v2, v2, v3, vcc
	v_subrev_u32_e32 v3, s0, v1
	v_cndmask_b32_e32 v1, v1, v3, vcc
	v_add_u32_e32 v3, 1, v2
	v_cmp_le_u32_e32 vcc, s0, v1
	v_readlane_b32 s0, v126, 36
	s_nop 0
	v_cndmask_b32_e32 v1, v2, v3, vcc
	scratch_load_dword v3, off, off offset:224 ; 4-byte Folded Reload
	v_xor_b32_e32 v1, v1, v0
	v_sub_u32_e32 v0, v1, v0
	v_mul_lo_u32 v1, v0, s16
	v_sub_u32_e32 v2, 0, v0
	v_sub_u32_e32 v5, v4, v1
	v_ashrrev_i32_e32 v1, 31, v0
	v_max_i32_e32 v2, v0, v2
	v_xor_b32_e32 v1, s0, v1
	v_readlane_b32 s0, v126, 37
	s_waitcnt vmcnt(0)
	v_mul_hi_u32 v3, v2, v3
	v_mul_lo_u32 v4, v3, s0
	v_sub_u32_e32 v2, v2, v4
	v_add_u32_e32 v4, 1, v3
	v_cmp_le_u32_e32 vcc, s0, v2
	s_nop 1
	v_cndmask_b32_e32 v3, v3, v4, vcc
	v_subrev_u32_e32 v4, s0, v2
	v_cndmask_b32_e32 v2, v2, v4, vcc
	v_add_u32_e32 v4, 1, v3
	v_cmp_le_u32_e32 vcc, s0, v2
	v_readlane_b32 s0, v126, 1
	v_readlane_b32 s3, v126, 4
	v_cndmask_b32_e32 v2, v3, v4, vcc
	scratch_load_dword v3, off, off offset:228 ; 4-byte Folded Reload
	v_xor_b32_e32 v2, v2, v1
	v_sub_u32_e32 v1, v2, v1
	v_mul_lo_u32 v2, v1, s3
	v_sub_u32_e32 v6, v0, v2
	v_sub_u32_e32 v2, 0, v1
	v_ashrrev_i32_e32 v0, 31, v1
	v_readlane_b32 s0, v126, 38
	v_max_i32_e32 v2, v1, v2
	v_readlane_b32 s2, v126, 3
	v_xor_b32_e32 v0, s0, v0
	v_readlane_b32 s0, v126, 39
	v_readlane_b32 s1, v126, 2
	s_waitcnt vmcnt(0)
	v_mul_hi_u32 v3, v2, v3
	v_mul_lo_u32 v4, v3, s0
	v_sub_u32_e32 v2, v2, v4
	v_add_u32_e32 v4, 1, v3
	v_cmp_le_u32_e32 vcc, s0, v2
	s_nop 1
	v_cndmask_b32_e32 v3, v3, v4, vcc
	v_subrev_u32_e32 v4, s0, v2
	v_cndmask_b32_e32 v2, v2, v4, vcc
	v_add_u32_e32 v4, 1, v3
	v_cmp_le_u32_e32 vcc, s0, v2
	v_readlane_b32 s0, v126, 13
	s_nop 0
	v_cndmask_b32_e32 v2, v3, v4, vcc
	scratch_load_dword v3, off, off offset:232 ; 4-byte Folded Reload
	v_xor_b32_e32 v2, v2, v0
	v_sub_u32_e32 v0, v2, v0
	v_mul_lo_u32 v2, v0, s2
	v_sub_u32_e32 v7, v1, v2
	v_sub_u32_e32 v2, 0, v0
	v_ashrrev_i32_e32 v1, 31, v0
	v_max_i32_e32 v2, v0, v2
	v_xor_b32_e32 v1, s0, v1
	v_readlane_b32 s0, v126, 0
	s_waitcnt vmcnt(0)
	v_mul_hi_u32 v3, v2, v3
	v_mul_lo_u32 v4, v3, s0
	v_sub_u32_e32 v2, v2, v4
	v_add_u32_e32 v4, 1, v3
	v_cmp_le_u32_e32 vcc, s0, v2
	s_nop 1
	v_cndmask_b32_e32 v3, v3, v4, vcc
	v_subrev_u32_e32 v4, s0, v2
	v_cndmask_b32_e32 v2, v2, v4, vcc
	v_add_u32_e32 v4, 1, v3
	v_cmp_le_u32_e32 vcc, s0, v2
	s_nop 1
	v_cndmask_b32_e32 v2, v3, v4, vcc
	v_xor_b32_e32 v2, v2, v1
	v_sub_u32_e32 v38, v2, v1
	v_mul_lo_u32 v1, v38, s1
	v_readlane_b32 s0, v126, 20
	v_readlane_b32 s1, v126, 21
	s_andn2_b64 vcc, exec, s[0:1]
	v_sub_u32_e32 v37, v0, v1
	s_cbranch_vccnz .LBB15_60
; %bb.3:                                ;   in Loop: Header=BB15_2 Depth=1
	scratch_load_dword v15, off, off offset:236 ; 4-byte Folded Reload
	scratch_load_dword v11, off, off offset:240 ; 4-byte Folded Reload
	;; [unrolled: 1-line block ×3, first 2 shown]
	v_readlane_b32 s40, v126, 44
	v_readlane_b32 s43, v126, 47
	;; [unrolled: 1-line block ×4, first 2 shown]
	v_add_u32_e32 v3, s43, v7
	v_sub_u32_e32 v1, 0, v3
	v_max_i32_e32 v1, v3, v1
	scratch_store_dword off, v5, off offset:200 ; 4-byte Folded Spill
	v_add_u32_e32 v2, s45, v5
	v_readlane_b32 s4, v126, 41
	scratch_store_dword off, v6, off offset:204 ; 4-byte Folded Spill
	v_add_u32_e32 v4, s44, v6
	v_ashrrev_i32_e32 v0, 31, v3
	v_readlane_b32 s24, v126, 40
	v_readlane_b32 s5, v126, 43
	scratch_store_dword off, v7, off offset:208 ; 4-byte Folded Spill
	v_xor_b32_e32 v0, s24, v0
	v_readlane_b32 s6, v126, 42
	v_readlane_b32 s8, v126, 52
	;; [unrolled: 1-line block ×5, first 2 shown]
	v_subrev_u32_e32 v13, s47, v4
	v_subrev_u32_e32 v16, s46, v3
	v_readlane_b32 s86, v126, 11
	v_readlane_b32 s87, v126, 12
	;; [unrolled: 1-line block ×5, first 2 shown]
                                        ; implicit-def: $vgpr127 : SGPR spill to VGPR lane
	v_mov_b64_e32 v[62:63], 0
	scratch_store_dword off, v38, off offset:216 ; 4-byte Folded Spill
	scratch_store_dword off, v37, off offset:212 ; 4-byte Folded Spill
	s_waitcnt vmcnt(7)
	v_mul_hi_u32 v5, v1, v15
	v_mul_lo_u32 v6, v5, s4
	v_sub_u32_e32 v1, v1, v6
	v_add_u32_e32 v6, 1, v5
	v_cmp_le_u32_e32 vcc, s4, v1
	s_nop 1
	v_cndmask_b32_e32 v5, v5, v6, vcc
	v_subrev_u32_e32 v6, s4, v1
	v_cndmask_b32_e32 v1, v1, v6, vcc
	v_add_u32_e32 v6, 1, v5
	v_cmp_le_u32_e32 vcc, s4, v1
	s_nop 1
	v_cndmask_b32_e32 v1, v5, v6, vcc
	v_xor_b32_e32 v1, v1, v0
	v_sub_u32_e32 v6, v1, v0
	v_sub_u32_e32 v1, 0, v4
	v_max_i32_e32 v1, v4, v1
	s_waitcnt vmcnt(6)
	v_mul_hi_u32 v5, v1, v11
	v_mul_lo_u32 v7, v5, s5
	v_sub_u32_e32 v1, v1, v7
	v_add_u32_e32 v7, 1, v5
	v_cmp_le_u32_e64 s[0:1], s5, v1
	v_ashrrev_i32_e32 v0, 31, v4
	v_xor_b32_e32 v0, s6, v0
	v_cndmask_b32_e64 v5, v5, v7, s[0:1]
	v_subrev_u32_e32 v7, s5, v1
	v_cndmask_b32_e64 v1, v1, v7, s[0:1]
	v_add_u32_e32 v7, 1, v5
	v_cmp_le_u32_e64 s[0:1], s5, v1
	v_cmp_gt_i32_e32 vcc, s85, v6
	s_nop 0
	v_cndmask_b32_e64 v1, v5, v7, s[0:1]
	v_sub_u32_e32 v5, 0, v2
	v_max_i32_e32 v5, v2, v5
	s_waitcnt vmcnt(5)
	v_mul_hi_u32 v7, v5, v27
	v_mul_lo_u32 v8, v7, s33
	v_sub_u32_e32 v5, v5, v8
	v_add_u32_e32 v8, 1, v7
	v_cmp_le_u32_e64 s[2:3], s33, v5
	v_xor_b32_e32 v1, v1, v0
	v_sub_u32_e32 v0, v1, v0
	v_cndmask_b32_e64 v7, v7, v8, s[2:3]
	v_subrev_u32_e32 v8, s33, v5
	v_cndmask_b32_e64 v5, v5, v8, s[2:3]
	v_ashrrev_i32_e32 v1, 31, v2
	v_add_u32_e32 v8, 1, v7
	v_cmp_le_u32_e64 s[2:3], s33, v5
	v_xor_b32_e32 v1, s8, v1
	v_cmp_gt_i32_e64 s[0:1], s86, v0
	v_cndmask_b32_e64 v5, v7, v8, s[2:3]
	v_xor_b32_e32 v5, v5, v1
	v_readlane_b32 s2, v126, 32
	v_sub_u32_e32 v1, v5, v1
	v_or_b32_e32 v20, v1, v0
	v_subrev_u32_e32 v5, s2, v4
	v_sub_u32_e32 v8, 0, v5
	v_max_i32_e32 v8, v5, v8
	v_mul_hi_u32 v9, v8, v11
	v_mul_lo_u32 v10, v9, s5
	v_sub_u32_e32 v8, v8, v10
	v_add_u32_e32 v10, 1, v9
	v_cmp_le_u32_e64 s[2:3], s5, v8
	v_ashrrev_i32_e32 v7, 31, v5
	v_xor_b32_e32 v7, s6, v7
	v_cndmask_b32_e64 v9, v9, v10, s[2:3]
	v_subrev_u32_e32 v10, s5, v8
	v_cndmask_b32_e64 v8, v8, v10, s[2:3]
	v_add_u32_e32 v10, 1, v9
	v_cmp_le_u32_e64 s[2:3], s5, v8
	s_nop 1
	v_cndmask_b32_e64 v8, v9, v10, s[2:3]
	v_sub_u32_e32 v9, 0, v13
	v_max_i32_e32 v9, v13, v9
	v_mul_hi_u32 v10, v9, v11
	v_mul_lo_u32 v11, v10, s5
	v_sub_u32_e32 v9, v9, v11
	v_add_u32_e32 v11, 1, v10
	v_cmp_le_u32_e64 s[2:3], s5, v9
	v_xor_b32_e32 v8, v8, v7
	v_sub_u32_e32 v7, v8, v7
	v_cndmask_b32_e64 v10, v10, v11, s[2:3]
	v_subrev_u32_e32 v11, s5, v9
	v_cndmask_b32_e64 v9, v9, v11, s[2:3]
	v_ashrrev_i32_e32 v8, 31, v13
	v_add_u32_e32 v11, 1, v10
	v_cmp_le_u32_e64 s[2:3], s5, v9
	v_xor_b32_e32 v8, s6, v8
	v_or_b32_e32 v12, v1, v7
	v_cndmask_b32_e64 v9, v10, v11, s[2:3]
	v_readlane_b32 s2, v126, 33
	v_xor_b32_e32 v9, v9, v8
	v_sub_u32_e32 v8, v9, v8
	v_subrev_u32_e32 v14, s2, v3
	v_sub_u32_e32 v9, 0, v14
	v_max_i32_e32 v9, v14, v9
	v_mul_hi_u32 v10, v9, v15
	v_mul_lo_u32 v11, v10, s4
	v_sub_u32_e32 v9, v9, v11
	v_add_u32_e32 v11, 1, v10
	v_cmp_le_u32_e64 s[2:3], s4, v9
	v_or_b32_e32 v17, v1, v8
	v_or_b32_e32 v31, v17, v6
	v_cndmask_b32_e64 v10, v10, v11, s[2:3]
	v_subrev_u32_e32 v11, s4, v9
	v_cndmask_b32_e64 v9, v9, v11, s[2:3]
	v_add_u32_e32 v11, 1, v10
	v_cmp_le_u32_e64 s[2:3], s4, v9
	v_ashrrev_i32_e32 v9, 31, v16
	v_xor_b32_e32 v9, s24, v9
	v_cndmask_b32_e64 v22, v10, v11, s[2:3]
	v_sub_u32_e32 v10, 0, v16
	v_max_i32_e32 v10, v16, v10
	v_mul_hi_u32 v11, v10, v15
	v_mul_lo_u32 v15, v11, s4
	v_sub_u32_e32 v10, v10, v15
	v_add_u32_e32 v15, 1, v11
	v_cmp_le_u32_e64 s[2:3], s4, v10
	v_or_b32_e32 v34, v12, v6
	s_nop 0
	v_cndmask_b32_e64 v11, v11, v15, s[2:3]
	v_subrev_u32_e32 v15, s4, v10
	v_cndmask_b32_e64 v10, v10, v15, s[2:3]
	v_add_u32_e32 v15, 1, v11
	v_cmp_le_u32_e64 s[2:3], s4, v10
	s_nop 1
	v_cndmask_b32_e64 v10, v11, v15, s[2:3]
	v_xor_b32_e32 v10, v10, v9
	v_sub_u32_e32 v10, v10, v9
	v_or_b32_e32 v9, v20, v6
	v_cmp_gt_i32_e64 s[2:3], s87, v1
	v_cmp_lt_i32_e64 s[4:5], -1, v9
	s_and_b64 s[10:11], s[2:3], s[0:1]
	s_and_b64 s[4:5], s[10:11], s[4:5]
	s_and_b64 s[4:5], s[4:5], vcc
	v_writelane_b32 v126, s4, 57
	v_or_b32_e32 v25, v20, v10
	s_nop 0
	v_writelane_b32 v126, s5, 58
	s_nop 0
	v_readlane_b32 s4, v126, 30
	s_nop 1
	v_subrev_u32_e32 v15, s4, v2
	v_sub_u32_e32 v11, 0, v15
	v_max_i32_e32 v11, v15, v11
	v_mul_hi_u32 v18, v11, v27
	v_mul_lo_u32 v19, v18, s33
	v_sub_u32_e32 v11, v11, v19
	v_add_u32_e32 v19, 1, v18
	v_cmp_le_u32_e64 s[4:5], s33, v11
	v_ashrrev_i32_e32 v9, 31, v15
	v_xor_b32_e32 v9, s8, v9
	v_cndmask_b32_e64 v18, v18, v19, s[4:5]
	v_subrev_u32_e32 v19, s33, v11
	v_cndmask_b32_e64 v11, v11, v19, s[4:5]
	v_add_u32_e32 v19, 1, v18
	v_cmp_le_u32_e64 s[4:5], s33, v11
	s_nop 1
	v_cndmask_b32_e64 v11, v18, v19, s[4:5]
	v_xor_b32_e32 v11, v11, v9
	v_sub_u32_e32 v9, v11, v9
	v_or_b32_e32 v24, v9, v0
	v_or_b32_e32 v11, v24, v6
	v_cmp_gt_i32_e64 s[4:5], s87, v9
	v_cmp_lt_i32_e64 s[6:7], -1, v11
	s_and_b64 s[12:13], s[4:5], s[0:1]
	s_and_b64 s[6:7], s[12:13], s[6:7]
	s_and_b64 s[6:7], s[6:7], vcc
	v_writelane_b32 v126, s6, 59
	v_or_b32_e32 v23, v9, v8
	v_or_b32_e32 v32, v23, v6
	v_writelane_b32 v126, s7, 60
	v_or_b32_e32 v19, v9, v7
	v_readlane_b32 s6, v126, 31
	v_or_b32_e32 v35, v19, v6
	v_or_b32_e32 v26, v24, v10
	v_subrev_u32_e32 v18, s6, v2
	v_sub_u32_e32 v21, 0, v18
	v_max_i32_e32 v21, v18, v21
	v_mul_hi_u32 v27, v21, v27
	v_mul_lo_u32 v28, v27, s33
	v_sub_u32_e32 v21, v21, v28
	v_add_u32_e32 v28, 1, v27
	v_cmp_le_u32_e64 s[6:7], s33, v21
	v_ashrrev_i32_e32 v11, 31, v18
	v_xor_b32_e32 v11, s8, v11
	v_cndmask_b32_e64 v27, v27, v28, s[6:7]
	v_subrev_u32_e32 v28, s33, v21
	v_cndmask_b32_e64 v21, v21, v28, s[6:7]
	v_add_u32_e32 v28, 1, v27
	v_cmp_le_u32_e64 s[6:7], s33, v21
	s_nop 1
	v_cndmask_b32_e64 v21, v27, v28, s[6:7]
	v_xor_b32_e32 v21, v21, v11
	v_sub_u32_e32 v11, v21, v11
	v_or_b32_e32 v28, v11, v0
	v_or_b32_e32 v30, v28, v6
	v_cmp_gt_i32_e64 s[8:9], s87, v11
	v_cmp_lt_i32_e64 s[6:7], -1, v30
	s_and_b64 s[14:15], s[8:9], s[0:1]
	s_and_b64 s[0:1], s[14:15], s[6:7]
	s_and_b64 s[0:1], s[0:1], vcc
	v_writelane_b32 v126, s0, 61
	v_cmp_lt_i32_e64 s[6:7], -1, v31
	v_or_b32_e32 v27, v11, v8
	v_writelane_b32 v126, s1, 62
	v_cmp_gt_i32_e64 s[0:1], s86, v8
	s_and_b64 s[18:19], s[2:3], s[0:1]
	s_and_b64 s[6:7], s[18:19], s[6:7]
	s_and_b64 s[6:7], s[6:7], vcc
	v_writelane_b32 v126, s6, 63
	s_and_b64 s[20:21], s[4:5], s[0:1]
	v_or_b32_e32 v33, v27, v6
	v_writelane_b32 v127, s7, 0
	v_cmp_lt_i32_e64 s[6:7], -1, v32
	s_and_b64 s[6:7], s[20:21], s[6:7]
	s_and_b64 s[6:7], s[6:7], vcc
	v_writelane_b32 v127, s6, 1
	s_and_b64 s[22:23], s[8:9], s[0:1]
	v_or_b32_e32 v21, v11, v7
	v_writelane_b32 v127, s7, 2
	v_cmp_lt_i32_e64 s[6:7], -1, v33
	s_and_b64 s[0:1], s[22:23], s[6:7]
	s_and_b64 s[0:1], s[0:1], vcc
	v_writelane_b32 v127, s0, 3
	v_cmp_lt_i32_e64 s[6:7], -1, v34
	v_or_b32_e32 v36, v21, v6
	v_writelane_b32 v127, s1, 4
	v_cmp_gt_i32_e64 s[0:1], s86, v7
	s_and_b64 s[16:17], s[2:3], s[0:1]
	s_and_b64 s[2:3], s[16:17], s[6:7]
	s_and_b64 s[2:3], s[2:3], vcc
	v_writelane_b32 v127, s2, 5
	s_and_b64 s[6:7], s[4:5], s[0:1]
	s_and_b64 s[8:9], s[8:9], s[0:1]
	v_writelane_b32 v127, s3, 6
	v_cmp_lt_i32_e64 s[2:3], -1, v35
	s_and_b64 s[2:3], s[6:7], s[2:3]
	s_and_b64 s[80:81], s[2:3], vcc
	v_cmp_lt_i32_e64 s[2:3], -1, v36
	s_and_b64 s[0:1], s[8:9], s[2:3]
	s_and_b64 s[78:79], s[0:1], vcc
	v_cmp_lt_i32_e64 s[0:1], -1, v25
	v_cmp_gt_i32_e32 vcc, s85, v10
	s_and_b64 s[0:1], s[10:11], s[0:1]
	s_and_b64 s[76:77], s[0:1], vcc
	v_cmp_lt_i32_e64 s[0:1], -1, v26
	v_or_b32_e32 v29, v28, v10
	s_and_b64 s[0:1], s[12:13], s[0:1]
	s_and_b64 s[64:65], s[0:1], vcc
	v_cmp_lt_i32_e64 s[0:1], -1, v29
	v_or_b32_e32 v30, v17, v10
	;; [unrolled: 4-line block ×6, first 2 shown]
	s_and_b64 s[0:1], s[16:17], s[0:1]
	v_ashrrev_i32_e32 v25, 31, v14
	s_and_b64 s[56:57], s[0:1], vcc
	v_cmp_lt_i32_e64 s[0:1], -1, v34
	v_xor_b32_e32 v25, s24, v25
	v_or_b32_e32 v35, v21, v10
	s_and_b64 s[0:1], s[6:7], s[0:1]
	v_xor_b32_e32 v22, v22, v25
	s_and_b64 s[58:59], s[0:1], vcc
	v_cmp_lt_i32_e64 s[0:1], -1, v35
	v_sub_u32_e32 v22, v22, v25
	s_and_b64 s[0:1], s[8:9], s[0:1]
	v_or_b32_e32 v20, v20, v22
	s_and_b64 s[60:61], s[0:1], vcc
	v_cmp_lt_i32_e32 vcc, -1, v20
	v_or_b32_e32 v20, v24, v22
	s_and_b64 s[10:11], s[10:11], vcc
	v_cmp_lt_i32_e32 vcc, -1, v20
	;; [unrolled: 3-line block ×6, first 2 shown]
	v_mul_lo_u32 v17, v6, s40
	v_mul_lo_u32 v20, v0, s41
	;; [unrolled: 1-line block ×4, first 2 shown]
	s_and_b64 s[22:23], s[22:23], vcc
	v_cmp_eq_u32_e32 vcc, v17, v3
	v_cmp_eq_u32_e64 s[0:1], v20, v4
	v_cmp_eq_u32_e64 s[2:3], v23, v13
	;; [unrolled: 1-line block ×3, first 2 shown]
	v_mul_lo_u32 v3, v10, s40
	s_and_b64 s[24:25], vcc, s[0:1]
	s_and_b64 s[26:27], vcc, s[2:3]
	;; [unrolled: 1-line block ×3, first 2 shown]
	v_cmp_eq_u32_e32 vcc, v3, v16
	v_mul_lo_u32 v3, v22, s40
	v_mul_lo_u32 v6, v6, s86
	s_and_b64 s[30:31], vcc, s[0:1]
	s_and_b64 s[34:35], vcc, s[2:3]
	s_and_b64 s[36:37], vcc, s[4:5]
	v_cmp_eq_u32_e32 vcc, v3, v14
	v_or_b32_e32 v3, v12, v22
	v_add_u32_e32 v12, v0, v6
	v_mul_lo_u32 v12, v12, s87
	v_mul_lo_u32 v4, v9, s42
	v_add_u32_e32 v14, v1, v12
	v_cmp_eq_u32_e64 s[50:51], v4, v15
	v_ashrrev_i32_e32 v15, 31, v14
	scratch_store_dwordx2 off, v[14:15], off ; 8-byte Folded Spill
	v_add_u32_e32 v14, v9, v12
	v_add_u32_e32 v12, v11, v12
	v_ashrrev_i32_e32 v13, 31, v12
	scratch_store_dwordx2 off, v[12:13], off offset:16 ; 8-byte Folded Spill
	v_add_u32_e32 v12, v8, v6
	v_ashrrev_i32_e32 v15, 31, v14
	v_mul_lo_u32 v12, v12, s87
	scratch_store_dwordx2 off, v[14:15], off offset:8 ; 8-byte Folded Spill
	v_add_u32_e32 v14, v1, v12
	v_ashrrev_i32_e32 v15, 31, v14
	scratch_store_dwordx2 off, v[14:15], off offset:24 ; 8-byte Folded Spill
	v_add_u32_e32 v14, v9, v12
	v_add_u32_e32 v12, v11, v12
	;; [unrolled: 1-line block ×3, first 2 shown]
	v_ashrrev_i32_e32 v13, 31, v12
	v_mul_lo_u32 v6, v6, s87
	scratch_store_dwordx2 off, v[12:13], off offset:40 ; 8-byte Folded Spill
	v_add_u32_e32 v12, v1, v6
	v_ashrrev_i32_e32 v13, 31, v12
	scratch_store_dwordx2 off, v[12:13], off offset:48 ; 8-byte Folded Spill
	v_add_u32_e32 v12, v9, v6
	v_ashrrev_i32_e32 v13, 31, v12
	scratch_store_dwordx2 off, v[12:13], off offset:56 ; 8-byte Folded Spill
	v_add_u32_e32 v12, v11, v6
	v_mul_lo_u32 v6, v10, s86
	v_add_u32_e32 v10, v0, v6
	v_ashrrev_i32_e32 v13, 31, v12
	v_mul_lo_u32 v10, v10, s87
	scratch_store_dwordx2 off, v[12:13], off offset:64 ; 8-byte Folded Spill
	v_add_u32_e32 v12, v1, v10
	v_ashrrev_i32_e32 v13, 31, v12
	scratch_store_dwordx2 off, v[12:13], off offset:72 ; 8-byte Folded Spill
	v_add_u32_e32 v12, v9, v10
	v_ashrrev_i32_e32 v13, 31, v12
	scratch_store_dwordx2 off, v[12:13], off offset:80 ; 8-byte Folded Spill
	v_add_u32_e32 v12, v11, v10
	v_add_u32_e32 v10, v8, v6
	v_ashrrev_i32_e32 v13, 31, v12
	v_mul_lo_u32 v10, v10, s87
	scratch_store_dwordx2 off, v[12:13], off offset:88 ; 8-byte Folded Spill
	v_add_u32_e32 v12, v1, v10
	v_ashrrev_i32_e32 v13, 31, v12
	scratch_store_dwordx2 off, v[12:13], off offset:96 ; 8-byte Folded Spill
	v_add_u32_e32 v12, v9, v10
	v_ashrrev_i32_e32 v13, 31, v12
	scratch_store_dwordx2 off, v[12:13], off offset:104 ; 8-byte Folded Spill
	v_add_u32_e32 v12, v11, v10
	;; [unrolled: 11-line block ×3, first 2 shown]
	v_mul_lo_u32 v6, v22, s86
	v_add_u32_e32 v0, v0, v6
	s_and_b64 s[40:41], vcc, s[0:1]
	s_and_b64 s[46:47], vcc, s[2:3]
	;; [unrolled: 1-line block ×3, first 2 shown]
	v_cmp_lt_i32_e32 vcc, -1, v3
	v_or_b32_e32 v3, v19, v22
	v_ashrrev_i32_e32 v13, 31, v12
	v_mul_lo_u32 v0, v0, s87
	s_and_b64 s[0:1], s[16:17], vcc
	v_cmp_lt_i32_e32 vcc, -1, v3
	v_or_b32_e32 v3, v21, v22
	scratch_store_dwordx2 off, v[12:13], off offset:136 ; 8-byte Folded Spill
	v_add_u32_e32 v12, v1, v0
	s_and_b64 s[2:3], s[6:7], vcc
	v_cmp_lt_i32_e32 vcc, -1, v3
	v_mul_lo_u32 v3, v1, s42
	v_mul_lo_u32 v5, v11, s42
	v_ashrrev_i32_e32 v13, 31, v12
	s_and_b64 s[4:5], s[8:9], vcc
	v_cmp_gt_i32_e32 vcc, s85, v22
	v_cmp_eq_u32_e64 s[48:49], v3, v2
	v_cmp_eq_u32_e64 s[52:53], v5, v18
	v_readlane_b32 s88, v126, 19
	scratch_store_dwordx2 off, v[12:13], off offset:144 ; 8-byte Folded Spill
	v_add_u32_e32 v12, v9, v0
	s_and_b64 s[62:63], s[10:11], vcc
	s_and_b64 s[68:69], s[12:13], vcc
	;; [unrolled: 1-line block ×9, first 2 shown]
	s_and_b64 vcc, s[24:25], s[48:49]
	s_and_b64 s[0:1], s[24:25], s[50:51]
	s_and_b64 s[2:3], s[24:25], s[52:53]
	;; [unrolled: 1-line block ×26, first 2 shown]
	v_mul_lo_u32 v52, v37, s88
	v_readlane_b32 s54, v126, 14
	v_ashrrev_i32_e32 v13, 31, v12
	scratch_store_dwordx2 off, v[12:13], off offset:152 ; 8-byte Folded Spill
	v_mul_lo_u32 v2, s54, v52
	v_readlane_b32 s54, v126, 22
	v_add_u32_e32 v12, v11, v0
	v_add_u32_e32 v0, v8, v6
	v_ashrrev_i32_e32 v3, 31, v2
	v_readlane_b32 s55, v126, 23
	v_ashrrev_i32_e32 v13, 31, v12
	v_mul_lo_u32 v0, v0, s87
	v_lshl_add_u64 v[2:3], v[2:3], 3, s[54:55]
	v_readlane_b32 s54, v126, 15
	scratch_store_dwordx2 off, v[12:13], off offset:160 ; 8-byte Folded Spill
	v_add_u32_e32 v12, v1, v0
	v_readlane_b32 s55, v126, 16
	v_ashrrev_i32_e32 v13, 31, v12
	v_mul_lo_u32 v4, s54, v38
	v_readlane_b32 s54, v126, 7
	scratch_store_dwordx2 off, v[12:13], off offset:168 ; 8-byte Folded Spill
	v_add_u32_e32 v12, v9, v0
	v_ashrrev_i32_e32 v5, 31, v4
	v_readlane_b32 s55, v126, 8
	v_ashrrev_i32_e32 v13, 31, v12
	scratch_store_dwordx2 off, v[12:13], off offset:176 ; 8-byte Folded Spill
	v_lshl_add_u64 v[4:5], v[4:5], 3, s[54:55]
	v_add_u32_e32 v12, v11, v0
	v_add_u32_e32 v0, v7, v6
	v_readlane_b32 s54, v126, 15
	v_mul_lo_u32 v0, v0, s87
	v_readlane_b32 s55, v126, 16
	v_add_u32_e32 v54, v1, v0
	v_add_u32_e32 v56, v9, v0
	;; [unrolled: 1-line block ×3, first 2 shown]
	s_mul_i32 s54, s55, s88
	v_add_u32_e32 v53, s88, v52
	v_ashrrev_i32_e32 v15, 31, v14
	v_ashrrev_i32_e32 v13, 31, v12
	;; [unrolled: 1-line block ×5, first 2 shown]
	v_mul_lo_u32 v60, s54, v37
	s_mov_b64 s[86:87], 0
	scratch_store_dwordx2 off, v[14:15], off offset:32 ; 8-byte Folded Spill
	scratch_store_dwordx2 off, v[12:13], off offset:184 ; 8-byte Folded Spill
	s_branch .LBB15_5
.LBB15_4:                               ;   in Loop: Header=BB15_5 Depth=2
	s_or_b64 exec, exec, s[54:55]
	s_waitcnt vmcnt(26)
	v_fma_f64 v[64:65], v[64:65], v[66:67], v[62:63]
	v_cndmask_b32_e32 v63, v63, v65, vcc
	v_cndmask_b32_e32 v62, v62, v64, vcc
	v_mov_b64_e32 v[64:65], v[62:63]
	s_waitcnt vmcnt(25)
	v_fmac_f64_e32 v[64:65], v[72:73], v[74:75]
	v_cndmask_b32_e64 v63, v63, v65, s[0:1]
	v_cndmask_b32_e64 v62, v62, v64, s[0:1]
	v_mov_b64_e32 v[64:65], v[62:63]
	s_waitcnt vmcnt(24)
	v_fmac_f64_e32 v[64:65], v[76:77], v[70:71]
	v_cndmask_b32_e64 v63, v63, v65, s[2:3]
	v_cndmask_b32_e64 v62, v62, v64, s[2:3]
	;; [unrolled: 5-line block ×24, first 2 shown]
	v_mov_b64_e32 v[6:7], v[0:1]
	s_waitcnt vmcnt(1)
	v_fmac_f64_e32 v[6:7], v[46:47], v[48:49]
	s_mov_b64 s[54:55], 0xd8
	v_add_u32_e32 v52, 1, v52
	v_cndmask_b32_e64 v1, v1, v7, s[50:51]
	v_cndmask_b32_e64 v0, v0, v6, s[50:51]
	v_lshl_add_u64 v[2:3], v[2:3], 0, s[54:55]
	v_cmp_ge_i32_e64 s[54:55], v52, v53
	v_mov_b64_e32 v[6:7], v[0:1]
	s_or_b64 s[86:87], s[54:55], s[86:87]
	v_readlane_b32 s54, v126, 15
	s_waitcnt vmcnt(0)
	v_fmac_f64_e32 v[6:7], v[50:51], v[44:45]
	v_readlane_b32 s55, v126, 16
	v_cndmask_b32_e64 v63, v1, v7, s[52:53]
	v_cndmask_b32_e64 v62, v0, v6, s[52:53]
	v_add_u32_e32 v60, s55, v60
	s_andn2_b64 exec, exec, s[86:87]
	s_cbranch_execz .LBB15_59
.LBB15_5:                               ;   Parent Loop BB15_2 Depth=1
                                        ; =>  This Inner Loop Header: Depth=2
	global_load_dwordx2 v[64:65], v[2:3], off
	v_ashrrev_i32_e32 v61, 31, v60
	v_lshl_add_u64 v[68:69], v[60:61], 3, v[4:5]
	v_mov_b64_e32 v[66:67], 0
	s_mov_b64 s[54:55], exec
	v_readlane_b32 s88, v126, 57
	v_readlane_b32 s89, v126, 58
	s_and_b64 s[88:89], s[54:55], s[88:89]
	s_mov_b64 exec, s[88:89]
	s_cbranch_execz .LBB15_7
; %bb.6:                                ;   in Loop: Header=BB15_5 Depth=2
	scratch_load_dwordx2 v[0:1], off, off   ; 8-byte Folded Reload
	s_waitcnt vmcnt(0)
	v_lshl_add_u64 v[0:1], v[0:1], 3, v[68:69]
	global_load_dwordx2 v[66:67], v[0:1], off
.LBB15_7:                               ;   in Loop: Header=BB15_5 Depth=2
	s_or_b64 exec, exec, s[54:55]
	global_load_dwordx2 v[72:73], v[2:3], off offset:8
	v_mov_b64_e32 v[70:71], 0
	v_mov_b64_e32 v[74:75], 0
	s_mov_b64 s[54:55], exec
	v_readlane_b32 s88, v126, 59
	v_readlane_b32 s89, v126, 60
	s_and_b64 s[88:89], s[54:55], s[88:89]
	s_mov_b64 exec, s[88:89]
	s_cbranch_execz .LBB15_9
; %bb.8:                                ;   in Loop: Header=BB15_5 Depth=2
	scratch_load_dwordx2 v[0:1], off, off offset:8 ; 8-byte Folded Reload
	s_waitcnt vmcnt(0)
	v_lshl_add_u64 v[0:1], v[0:1], 3, v[68:69]
	global_load_dwordx2 v[74:75], v[0:1], off
.LBB15_9:                               ;   in Loop: Header=BB15_5 Depth=2
	s_or_b64 exec, exec, s[54:55]
	global_load_dwordx2 v[76:77], v[2:3], off offset:16
	s_mov_b64 s[54:55], exec
	v_readlane_b32 s88, v126, 61
	v_readlane_b32 s89, v126, 62
	s_and_b64 s[88:89], s[54:55], s[88:89]
	s_mov_b64 exec, s[88:89]
	s_cbranch_execz .LBB15_11
; %bb.10:                               ;   in Loop: Header=BB15_5 Depth=2
	scratch_load_dwordx2 v[0:1], off, off offset:16 ; 8-byte Folded Reload
	s_waitcnt vmcnt(0)
	v_lshl_add_u64 v[0:1], v[0:1], 3, v[68:69]
	global_load_dwordx2 v[70:71], v[0:1], off
.LBB15_11:                              ;   in Loop: Header=BB15_5 Depth=2
	s_or_b64 exec, exec, s[54:55]
	global_load_dwordx2 v[80:81], v[2:3], off offset:24
	v_mov_b64_e32 v[78:79], 0
	v_mov_b64_e32 v[82:83], 0
	s_mov_b64 s[54:55], exec
	v_readlane_b32 s88, v126, 63
	v_readlane_b32 s89, v127, 0
	s_and_b64 s[88:89], s[54:55], s[88:89]
	s_mov_b64 exec, s[88:89]
	s_cbranch_execz .LBB15_13
; %bb.12:                               ;   in Loop: Header=BB15_5 Depth=2
	scratch_load_dwordx2 v[0:1], off, off offset:24 ; 8-byte Folded Reload
	s_waitcnt vmcnt(0)
	v_lshl_add_u64 v[0:1], v[0:1], 3, v[68:69]
	global_load_dwordx2 v[82:83], v[0:1], off
.LBB15_13:                              ;   in Loop: Header=BB15_5 Depth=2
	s_or_b64 exec, exec, s[54:55]
	global_load_dwordx2 v[84:85], v[2:3], off offset:32
	s_mov_b64 s[54:55], exec
	v_readlane_b32 s88, v127, 1
	v_readlane_b32 s89, v127, 2
	s_and_b64 s[88:89], s[54:55], s[88:89]
	s_mov_b64 exec, s[88:89]
	s_cbranch_execz .LBB15_15
; %bb.14:                               ;   in Loop: Header=BB15_5 Depth=2
	scratch_load_dwordx2 v[0:1], off, off offset:32 ; 8-byte Folded Reload
	s_waitcnt vmcnt(0)
	v_lshl_add_u64 v[0:1], v[0:1], 3, v[68:69]
	global_load_dwordx2 v[78:79], v[0:1], off
.LBB15_15:                              ;   in Loop: Header=BB15_5 Depth=2
	s_or_b64 exec, exec, s[54:55]
	global_load_dwordx2 v[88:89], v[2:3], off offset:40
	v_mov_b64_e32 v[86:87], 0
	v_mov_b64_e32 v[90:91], 0
	s_mov_b64 s[54:55], exec
	v_readlane_b32 s88, v127, 3
	v_readlane_b32 s89, v127, 4
	s_and_b64 s[88:89], s[54:55], s[88:89]
	s_mov_b64 exec, s[88:89]
	s_cbranch_execz .LBB15_17
; %bb.16:                               ;   in Loop: Header=BB15_5 Depth=2
	scratch_load_dwordx2 v[0:1], off, off offset:40 ; 8-byte Folded Reload
	s_waitcnt vmcnt(0)
	v_lshl_add_u64 v[0:1], v[0:1], 3, v[68:69]
	global_load_dwordx2 v[90:91], v[0:1], off
.LBB15_17:                              ;   in Loop: Header=BB15_5 Depth=2
	s_or_b64 exec, exec, s[54:55]
	global_load_dwordx2 v[92:93], v[2:3], off offset:48
	s_mov_b64 s[54:55], exec
	v_readlane_b32 s88, v127, 5
	v_readlane_b32 s89, v127, 6
	s_and_b64 s[88:89], s[54:55], s[88:89]
	s_mov_b64 exec, s[88:89]
	s_cbranch_execz .LBB15_19
; %bb.18:                               ;   in Loop: Header=BB15_5 Depth=2
	scratch_load_dwordx2 v[0:1], off, off offset:48 ; 8-byte Folded Reload
	s_waitcnt vmcnt(0)
	v_lshl_add_u64 v[0:1], v[0:1], 3, v[68:69]
	global_load_dwordx2 v[86:87], v[0:1], off
.LBB15_19:                              ;   in Loop: Header=BB15_5 Depth=2
	s_or_b64 exec, exec, s[54:55]
	global_load_dwordx2 v[96:97], v[2:3], off offset:56
	v_mov_b64_e32 v[94:95], 0
	v_mov_b64_e32 v[98:99], 0
	s_and_saveexec_b64 s[54:55], s[80:81]
	s_cbranch_execz .LBB15_21
; %bb.20:                               ;   in Loop: Header=BB15_5 Depth=2
	scratch_load_dwordx2 v[0:1], off, off offset:56 ; 8-byte Folded Reload
	s_waitcnt vmcnt(0)
	v_lshl_add_u64 v[0:1], v[0:1], 3, v[68:69]
	global_load_dwordx2 v[98:99], v[0:1], off
.LBB15_21:                              ;   in Loop: Header=BB15_5 Depth=2
	s_or_b64 exec, exec, s[54:55]
	global_load_dwordx2 v[100:101], v[2:3], off offset:64
	s_and_saveexec_b64 s[54:55], s[78:79]
	s_cbranch_execz .LBB15_23
; %bb.22:                               ;   in Loop: Header=BB15_5 Depth=2
	scratch_load_dwordx2 v[0:1], off, off offset:64 ; 8-byte Folded Reload
	s_waitcnt vmcnt(0)
	v_lshl_add_u64 v[0:1], v[0:1], 3, v[68:69]
	global_load_dwordx2 v[94:95], v[0:1], off
.LBB15_23:                              ;   in Loop: Header=BB15_5 Depth=2
	s_or_b64 exec, exec, s[54:55]
	global_load_dwordx2 v[104:105], v[2:3], off offset:72
	v_mov_b64_e32 v[102:103], 0
	v_mov_b64_e32 v[106:107], 0
	s_and_saveexec_b64 s[54:55], s[76:77]
	s_cbranch_execz .LBB15_25
; %bb.24:                               ;   in Loop: Header=BB15_5 Depth=2
	scratch_load_dwordx2 v[0:1], off, off offset:72 ; 8-byte Folded Reload
	s_waitcnt vmcnt(0)
	v_lshl_add_u64 v[0:1], v[0:1], 3, v[68:69]
	global_load_dwordx2 v[106:107], v[0:1], off
.LBB15_25:                              ;   in Loop: Header=BB15_5 Depth=2
	s_or_b64 exec, exec, s[54:55]
	global_load_dwordx2 v[108:109], v[2:3], off offset:80
	s_and_saveexec_b64 s[54:55], s[64:65]
	;; [unrolled: 22-line block ×9, first 2 shown]
	s_cbranch_execz .LBB15_55
; %bb.54:                               ;   in Loop: Header=BB15_5 Depth=2
	v_lshl_add_u64 v[36:37], v[54:55], 3, v[68:69]
	global_load_dwordx2 v[36:37], v[36:37], off
.LBB15_55:                              ;   in Loop: Header=BB15_5 Depth=2
	s_or_b64 exec, exec, s[54:55]
	global_load_dwordx2 v[46:47], v[2:3], off offset:200
	v_mov_b64_e32 v[44:45], 0
	v_mov_b64_e32 v[48:49], 0
	s_and_saveexec_b64 s[54:55], s[82:83]
	s_cbranch_execz .LBB15_57
; %bb.56:                               ;   in Loop: Header=BB15_5 Depth=2
	v_lshl_add_u64 v[48:49], v[56:57], 3, v[68:69]
	global_load_dwordx2 v[48:49], v[48:49], off
.LBB15_57:                              ;   in Loop: Header=BB15_5 Depth=2
	s_or_b64 exec, exec, s[54:55]
	global_load_dwordx2 v[50:51], v[2:3], off offset:208
	s_and_saveexec_b64 s[54:55], s[90:91]
	s_cbranch_execz .LBB15_4
; %bb.58:                               ;   in Loop: Header=BB15_5 Depth=2
	v_lshl_add_u64 v[44:45], v[58:59], 3, v[68:69]
	global_load_dwordx2 v[44:45], v[44:45], off
	s_branch .LBB15_4
.LBB15_59:                              ;   in Loop: Header=BB15_2 Depth=1
	s_or_b64 exec, exec, s[86:87]
	scratch_load_dword v5, off, off offset:200 ; 4-byte Folded Reload
	scratch_load_dword v6, off, off offset:204 ; 4-byte Folded Reload
	scratch_load_dword v7, off, off offset:208 ; 4-byte Folded Reload
	scratch_load_dword v37, off, off offset:212 ; 4-byte Folded Reload
	scratch_load_dword v38, off, off offset:216 ; 4-byte Folded Reload
	v_readlane_b32 s16, v126, 53
	v_readlane_b32 s17, v126, 54
	s_branch .LBB15_61
.LBB15_60:                              ;   in Loop: Header=BB15_2 Depth=1
	v_mov_b64_e32 v[62:63], 0
.LBB15_61:                              ;   in Loop: Header=BB15_2 Depth=1
	v_readlane_b32 s4, v126, 55
	v_readlane_b32 s5, v126, 56
; %bb.62:                               ;   in Loop: Header=BB15_2 Depth=1
	s_waitcnt vmcnt(0)
	v_mul_lo_u32 v0, v38, s17
	v_readlane_b32 s0, v126, 17
	v_ashrrev_i32_e32 v1, 31, v0
	v_readlane_b32 s1, v126, 18
	s_nop 1
	v_lshl_add_u64 v[0:1], v[0:1], 3, s[0:1]
	v_readlane_b32 s0, v126, 24
	v_readlane_b32 s1, v126, 25
	;; [unrolled: 1-line block ×3, first 2 shown]
	v_mul_lo_u32 v2, s0, v37
	v_ashrrev_i32_e32 v3, 31, v2
	v_lshl_add_u64 v[0:1], v[2:3], 3, v[0:1]
	v_mul_lo_u32 v2, s1, v7
	v_ashrrev_i32_e32 v3, 31, v2
	v_lshl_add_u64 v[0:1], v[2:3], 3, v[0:1]
	v_mul_lo_u32 v2, s2, v6
	v_readlane_b32 s3, v126, 27
	v_ashrrev_i32_e32 v3, 31, v2
	v_lshl_add_u64 v[0:1], v[2:3], 3, v[0:1]
	v_mul_lo_u32 v2, s3, v5
	scratch_load_dwordx2 v[4:5], off, off offset:192 ; 8-byte Folded Reload
	v_readlane_b32 s0, v126, 28
	v_readlane_b32 s1, v126, 29
	v_ashrrev_i32_e32 v3, 31, v2
	v_lshl_add_u64 v[0:1], v[2:3], 3, v[0:1]
	global_store_dwordx2 v[0:1], v[62:63], off
	s_waitcnt vmcnt(1)
	v_lshl_add_u64 v[4:5], v[4:5], 0, s[0:1]
	v_readlane_b32 s0, v126, 5
	v_readlane_b32 s1, v126, 6
	s_nop 1
	v_cmp_le_i64_e32 vcc, s[0:1], v[4:5]
	s_or_b64 s[4:5], vcc, s[4:5]
	s_andn2_b64 exec, exec, s[4:5]
	s_cbranch_execnz .LBB15_2
.LBB15_63:
	s_endpgm
	.section	.rodata,"a",@progbits
	.p2align	6, 0x0
	.amdhsa_kernel _ZN2at6native12_GLOBAL__N_143conv_depthwise3d_cuda_backward_input_kernelIddLi3ELi3ELi3ELin1ELin1ELin1ELin1ELin1ELin1EEEvN5torch10headeronly6detail27GenericPackedTensorAccessorINS5_14TensorAccessorIN3c108ArrayRefIlEEKT_Lm4ENS4_16DefaultPtrTraitsEiEENS_6detail16IndexBoundsCheckILm5EiEESC_Lm5ESD_iEENS6_INS7_ISA_SB_Lm4ESD_iEESH_SB_Lm5ESD_iEESI_iiiiiiiii
		.amdhsa_group_segment_fixed_size 0
		.amdhsa_private_segment_fixed_size 252
		.amdhsa_kernarg_size 440
		.amdhsa_user_sgpr_count 2
		.amdhsa_user_sgpr_dispatch_ptr 0
		.amdhsa_user_sgpr_queue_ptr 0
		.amdhsa_user_sgpr_kernarg_segment_ptr 1
		.amdhsa_user_sgpr_dispatch_id 0
		.amdhsa_user_sgpr_kernarg_preload_length 0
		.amdhsa_user_sgpr_kernarg_preload_offset 0
		.amdhsa_user_sgpr_private_segment_size 0
		.amdhsa_uses_dynamic_stack 0
		.amdhsa_enable_private_segment 1
		.amdhsa_system_sgpr_workgroup_id_x 1
		.amdhsa_system_sgpr_workgroup_id_y 0
		.amdhsa_system_sgpr_workgroup_id_z 0
		.amdhsa_system_sgpr_workgroup_info 0
		.amdhsa_system_vgpr_workitem_id 0
		.amdhsa_next_free_vgpr 128
		.amdhsa_next_free_sgpr 100
		.amdhsa_accum_offset 128
		.amdhsa_reserve_vcc 1
		.amdhsa_float_round_mode_32 0
		.amdhsa_float_round_mode_16_64 0
		.amdhsa_float_denorm_mode_32 3
		.amdhsa_float_denorm_mode_16_64 3
		.amdhsa_dx10_clamp 1
		.amdhsa_ieee_mode 1
		.amdhsa_fp16_overflow 0
		.amdhsa_tg_split 0
		.amdhsa_exception_fp_ieee_invalid_op 0
		.amdhsa_exception_fp_denorm_src 0
		.amdhsa_exception_fp_ieee_div_zero 0
		.amdhsa_exception_fp_ieee_overflow 0
		.amdhsa_exception_fp_ieee_underflow 0
		.amdhsa_exception_fp_ieee_inexact 0
		.amdhsa_exception_int_div_zero 0
	.end_amdhsa_kernel
	.section	.text._ZN2at6native12_GLOBAL__N_143conv_depthwise3d_cuda_backward_input_kernelIddLi3ELi3ELi3ELin1ELin1ELin1ELin1ELin1ELin1EEEvN5torch10headeronly6detail27GenericPackedTensorAccessorINS5_14TensorAccessorIN3c108ArrayRefIlEEKT_Lm4ENS4_16DefaultPtrTraitsEiEENS_6detail16IndexBoundsCheckILm5EiEESC_Lm5ESD_iEENS6_INS7_ISA_SB_Lm4ESD_iEESH_SB_Lm5ESD_iEESI_iiiiiiiii,"axG",@progbits,_ZN2at6native12_GLOBAL__N_143conv_depthwise3d_cuda_backward_input_kernelIddLi3ELi3ELi3ELin1ELin1ELin1ELin1ELin1ELin1EEEvN5torch10headeronly6detail27GenericPackedTensorAccessorINS5_14TensorAccessorIN3c108ArrayRefIlEEKT_Lm4ENS4_16DefaultPtrTraitsEiEENS_6detail16IndexBoundsCheckILm5EiEESC_Lm5ESD_iEENS6_INS7_ISA_SB_Lm4ESD_iEESH_SB_Lm5ESD_iEESI_iiiiiiiii,comdat
.Lfunc_end15:
	.size	_ZN2at6native12_GLOBAL__N_143conv_depthwise3d_cuda_backward_input_kernelIddLi3ELi3ELi3ELin1ELin1ELin1ELin1ELin1ELin1EEEvN5torch10headeronly6detail27GenericPackedTensorAccessorINS5_14TensorAccessorIN3c108ArrayRefIlEEKT_Lm4ENS4_16DefaultPtrTraitsEiEENS_6detail16IndexBoundsCheckILm5EiEESC_Lm5ESD_iEENS6_INS7_ISA_SB_Lm4ESD_iEESH_SB_Lm5ESD_iEESI_iiiiiiiii, .Lfunc_end15-_ZN2at6native12_GLOBAL__N_143conv_depthwise3d_cuda_backward_input_kernelIddLi3ELi3ELi3ELin1ELin1ELin1ELin1ELin1ELin1EEEvN5torch10headeronly6detail27GenericPackedTensorAccessorINS5_14TensorAccessorIN3c108ArrayRefIlEEKT_Lm4ENS4_16DefaultPtrTraitsEiEENS_6detail16IndexBoundsCheckILm5EiEESC_Lm5ESD_iEENS6_INS7_ISA_SB_Lm4ESD_iEESH_SB_Lm5ESD_iEESI_iiiiiiiii
                                        ; -- End function
	.set _ZN2at6native12_GLOBAL__N_143conv_depthwise3d_cuda_backward_input_kernelIddLi3ELi3ELi3ELin1ELin1ELin1ELin1ELin1ELin1EEEvN5torch10headeronly6detail27GenericPackedTensorAccessorINS5_14TensorAccessorIN3c108ArrayRefIlEEKT_Lm4ENS4_16DefaultPtrTraitsEiEENS_6detail16IndexBoundsCheckILm5EiEESC_Lm5ESD_iEENS6_INS7_ISA_SB_Lm4ESD_iEESH_SB_Lm5ESD_iEESI_iiiiiiiii.num_vgpr, 128
	.set _ZN2at6native12_GLOBAL__N_143conv_depthwise3d_cuda_backward_input_kernelIddLi3ELi3ELi3ELin1ELin1ELin1ELin1ELin1ELin1EEEvN5torch10headeronly6detail27GenericPackedTensorAccessorINS5_14TensorAccessorIN3c108ArrayRefIlEEKT_Lm4ENS4_16DefaultPtrTraitsEiEENS_6detail16IndexBoundsCheckILm5EiEESC_Lm5ESD_iEENS6_INS7_ISA_SB_Lm4ESD_iEESH_SB_Lm5ESD_iEESI_iiiiiiiii.num_agpr, 0
	.set _ZN2at6native12_GLOBAL__N_143conv_depthwise3d_cuda_backward_input_kernelIddLi3ELi3ELi3ELin1ELin1ELin1ELin1ELin1ELin1EEEvN5torch10headeronly6detail27GenericPackedTensorAccessorINS5_14TensorAccessorIN3c108ArrayRefIlEEKT_Lm4ENS4_16DefaultPtrTraitsEiEENS_6detail16IndexBoundsCheckILm5EiEESC_Lm5ESD_iEENS6_INS7_ISA_SB_Lm4ESD_iEESH_SB_Lm5ESD_iEESI_iiiiiiiii.numbered_sgpr, 100
	.set _ZN2at6native12_GLOBAL__N_143conv_depthwise3d_cuda_backward_input_kernelIddLi3ELi3ELi3ELin1ELin1ELin1ELin1ELin1ELin1EEEvN5torch10headeronly6detail27GenericPackedTensorAccessorINS5_14TensorAccessorIN3c108ArrayRefIlEEKT_Lm4ENS4_16DefaultPtrTraitsEiEENS_6detail16IndexBoundsCheckILm5EiEESC_Lm5ESD_iEENS6_INS7_ISA_SB_Lm4ESD_iEESH_SB_Lm5ESD_iEESI_iiiiiiiii.num_named_barrier, 0
	.set _ZN2at6native12_GLOBAL__N_143conv_depthwise3d_cuda_backward_input_kernelIddLi3ELi3ELi3ELin1ELin1ELin1ELin1ELin1ELin1EEEvN5torch10headeronly6detail27GenericPackedTensorAccessorINS5_14TensorAccessorIN3c108ArrayRefIlEEKT_Lm4ENS4_16DefaultPtrTraitsEiEENS_6detail16IndexBoundsCheckILm5EiEESC_Lm5ESD_iEENS6_INS7_ISA_SB_Lm4ESD_iEESH_SB_Lm5ESD_iEESI_iiiiiiiii.private_seg_size, 252
	.set _ZN2at6native12_GLOBAL__N_143conv_depthwise3d_cuda_backward_input_kernelIddLi3ELi3ELi3ELin1ELin1ELin1ELin1ELin1ELin1EEEvN5torch10headeronly6detail27GenericPackedTensorAccessorINS5_14TensorAccessorIN3c108ArrayRefIlEEKT_Lm4ENS4_16DefaultPtrTraitsEiEENS_6detail16IndexBoundsCheckILm5EiEESC_Lm5ESD_iEENS6_INS7_ISA_SB_Lm4ESD_iEESH_SB_Lm5ESD_iEESI_iiiiiiiii.uses_vcc, 1
	.set _ZN2at6native12_GLOBAL__N_143conv_depthwise3d_cuda_backward_input_kernelIddLi3ELi3ELi3ELin1ELin1ELin1ELin1ELin1ELin1EEEvN5torch10headeronly6detail27GenericPackedTensorAccessorINS5_14TensorAccessorIN3c108ArrayRefIlEEKT_Lm4ENS4_16DefaultPtrTraitsEiEENS_6detail16IndexBoundsCheckILm5EiEESC_Lm5ESD_iEENS6_INS7_ISA_SB_Lm4ESD_iEESH_SB_Lm5ESD_iEESI_iiiiiiiii.uses_flat_scratch, 0
	.set _ZN2at6native12_GLOBAL__N_143conv_depthwise3d_cuda_backward_input_kernelIddLi3ELi3ELi3ELin1ELin1ELin1ELin1ELin1ELin1EEEvN5torch10headeronly6detail27GenericPackedTensorAccessorINS5_14TensorAccessorIN3c108ArrayRefIlEEKT_Lm4ENS4_16DefaultPtrTraitsEiEENS_6detail16IndexBoundsCheckILm5EiEESC_Lm5ESD_iEENS6_INS7_ISA_SB_Lm4ESD_iEESH_SB_Lm5ESD_iEESI_iiiiiiiii.has_dyn_sized_stack, 0
	.set _ZN2at6native12_GLOBAL__N_143conv_depthwise3d_cuda_backward_input_kernelIddLi3ELi3ELi3ELin1ELin1ELin1ELin1ELin1ELin1EEEvN5torch10headeronly6detail27GenericPackedTensorAccessorINS5_14TensorAccessorIN3c108ArrayRefIlEEKT_Lm4ENS4_16DefaultPtrTraitsEiEENS_6detail16IndexBoundsCheckILm5EiEESC_Lm5ESD_iEENS6_INS7_ISA_SB_Lm4ESD_iEESH_SB_Lm5ESD_iEESI_iiiiiiiii.has_recursion, 0
	.set _ZN2at6native12_GLOBAL__N_143conv_depthwise3d_cuda_backward_input_kernelIddLi3ELi3ELi3ELin1ELin1ELin1ELin1ELin1ELin1EEEvN5torch10headeronly6detail27GenericPackedTensorAccessorINS5_14TensorAccessorIN3c108ArrayRefIlEEKT_Lm4ENS4_16DefaultPtrTraitsEiEENS_6detail16IndexBoundsCheckILm5EiEESC_Lm5ESD_iEENS6_INS7_ISA_SB_Lm4ESD_iEESH_SB_Lm5ESD_iEESI_iiiiiiiii.has_indirect_call, 0
	.section	.AMDGPU.csdata,"",@progbits
; Kernel info:
; codeLenInByte = 7336
; TotalNumSgprs: 106
; NumVgprs: 128
; NumAgprs: 0
; TotalNumVgprs: 128
; ScratchSize: 252
; MemoryBound: 0
; FloatMode: 240
; IeeeMode: 1
; LDSByteSize: 0 bytes/workgroup (compile time only)
; SGPRBlocks: 13
; VGPRBlocks: 15
; NumSGPRsForWavesPerEU: 106
; NumVGPRsForWavesPerEU: 128
; AccumOffset: 128
; Occupancy: 4
; WaveLimiterHint : 0
; COMPUTE_PGM_RSRC2:SCRATCH_EN: 1
; COMPUTE_PGM_RSRC2:USER_SGPR: 2
; COMPUTE_PGM_RSRC2:TRAP_HANDLER: 0
; COMPUTE_PGM_RSRC2:TGID_X_EN: 1
; COMPUTE_PGM_RSRC2:TGID_Y_EN: 0
; COMPUTE_PGM_RSRC2:TGID_Z_EN: 0
; COMPUTE_PGM_RSRC2:TIDIG_COMP_CNT: 0
; COMPUTE_PGM_RSRC3_GFX90A:ACCUM_OFFSET: 31
; COMPUTE_PGM_RSRC3_GFX90A:TG_SPLIT: 0
	.section	.text._ZN2at6native12_GLOBAL__N_143conv_depthwise3d_cuda_backward_input_kernelIddLin1ELin1ELin1ELin1ELin1ELin1ELin1ELin1ELin1EEEvN5torch10headeronly6detail27GenericPackedTensorAccessorINS5_14TensorAccessorIN3c108ArrayRefIlEEKT_Lm4ENS4_16DefaultPtrTraitsEiEENS_6detail16IndexBoundsCheckILm5EiEESC_Lm5ESD_iEENS6_INS7_ISA_SB_Lm4ESD_iEESH_SB_Lm5ESD_iEESI_iiiiiiiii,"axG",@progbits,_ZN2at6native12_GLOBAL__N_143conv_depthwise3d_cuda_backward_input_kernelIddLin1ELin1ELin1ELin1ELin1ELin1ELin1ELin1ELin1EEEvN5torch10headeronly6detail27GenericPackedTensorAccessorINS5_14TensorAccessorIN3c108ArrayRefIlEEKT_Lm4ENS4_16DefaultPtrTraitsEiEENS_6detail16IndexBoundsCheckILm5EiEESC_Lm5ESD_iEENS6_INS7_ISA_SB_Lm4ESD_iEESH_SB_Lm5ESD_iEESI_iiiiiiiii,comdat
	.globl	_ZN2at6native12_GLOBAL__N_143conv_depthwise3d_cuda_backward_input_kernelIddLin1ELin1ELin1ELin1ELin1ELin1ELin1ELin1ELin1EEEvN5torch10headeronly6detail27GenericPackedTensorAccessorINS5_14TensorAccessorIN3c108ArrayRefIlEEKT_Lm4ENS4_16DefaultPtrTraitsEiEENS_6detail16IndexBoundsCheckILm5EiEESC_Lm5ESD_iEENS6_INS7_ISA_SB_Lm4ESD_iEESH_SB_Lm5ESD_iEESI_iiiiiiiii ; -- Begin function _ZN2at6native12_GLOBAL__N_143conv_depthwise3d_cuda_backward_input_kernelIddLin1ELin1ELin1ELin1ELin1ELin1ELin1ELin1ELin1EEEvN5torch10headeronly6detail27GenericPackedTensorAccessorINS5_14TensorAccessorIN3c108ArrayRefIlEEKT_Lm4ENS4_16DefaultPtrTraitsEiEENS_6detail16IndexBoundsCheckILm5EiEESC_Lm5ESD_iEENS6_INS7_ISA_SB_Lm4ESD_iEESH_SB_Lm5ESD_iEESI_iiiiiiiii
	.p2align	8
	.type	_ZN2at6native12_GLOBAL__N_143conv_depthwise3d_cuda_backward_input_kernelIddLin1ELin1ELin1ELin1ELin1ELin1ELin1ELin1ELin1EEEvN5torch10headeronly6detail27GenericPackedTensorAccessorINS5_14TensorAccessorIN3c108ArrayRefIlEEKT_Lm4ENS4_16DefaultPtrTraitsEiEENS_6detail16IndexBoundsCheckILm5EiEESC_Lm5ESD_iEENS6_INS7_ISA_SB_Lm4ESD_iEESH_SB_Lm5ESD_iEESI_iiiiiiiii,@function
_ZN2at6native12_GLOBAL__N_143conv_depthwise3d_cuda_backward_input_kernelIddLin1ELin1ELin1ELin1ELin1ELin1ELin1ELin1ELin1EEEvN5torch10headeronly6detail27GenericPackedTensorAccessorINS5_14TensorAccessorIN3c108ArrayRefIlEEKT_Lm4ENS4_16DefaultPtrTraitsEiEENS_6detail16IndexBoundsCheckILm5EiEESC_Lm5ESD_iEENS6_INS7_ISA_SB_Lm4ESD_iEESH_SB_Lm5ESD_iEESI_iiiiiiiii: ; @_ZN2at6native12_GLOBAL__N_143conv_depthwise3d_cuda_backward_input_kernelIddLin1ELin1ELin1ELin1ELin1ELin1ELin1ELin1ELin1EEEvN5torch10headeronly6detail27GenericPackedTensorAccessorINS5_14TensorAccessorIN3c108ArrayRefIlEEKT_Lm4ENS4_16DefaultPtrTraitsEiEENS_6detail16IndexBoundsCheckILm5EiEESC_Lm5ESD_iEENS6_INS7_ISA_SB_Lm4ESD_iEESH_SB_Lm5ESD_iEESI_iiiiiiiii
; %bb.0:
	s_load_dwordx4 s[20:23], s[0:1], 0x38
	s_load_dwordx2 s[10:11], s[0:1], 0x48
	s_load_dword s4, s[0:1], 0xc4
	v_mov_b32_e32 v3, s2
	v_mov_b32_e32 v1, 0
	s_waitcnt lgkmcnt(0)
	s_abs_i32 s33, s21
	v_cvt_f32_u32_e32 v2, s33
	s_add_u32 s2, s0, 0xb8
	s_mul_i32 s34, s11, s20
	s_addc_u32 s3, s1, 0
	v_rcp_iflag_f32_e32 v2, v2
	s_and_b32 s4, s4, 0xffff
	s_ashr_i32 s35, s34, 31
	v_mad_u64_u32 v[0:1], s[6:7], s4, v3, v[0:1]
	v_mul_f32_e32 v2, 0x4f7ffffe, v2
	v_cvt_u32_f32_e32 v2, v2
	v_cmp_gt_i64_e32 vcc, s[34:35], v[0:1]
	v_readfirstlane_b32 s5, v2
	s_and_saveexec_b64 s[6:7], vcc
	s_cbranch_execz .LBB16_19
; %bb.1:
	s_load_dwordx4 s[24:27], s[0:1], 0xc
	s_load_dwordx2 s[42:43], s[0:1], 0x0
	s_sub_i32 s8, 0, s33
	s_mul_i32 s9, s8, s5
	s_mul_hi_u32 s9, s5, s9
	s_waitcnt lgkmcnt(0)
	s_abs_i32 s7, s24
	s_add_i32 s5, s5, s9
	s_mul_hi_u32 s5, s7, s5
	s_mul_i32 s9, s5, s33
	s_ashr_i32 s20, s21, 31
	s_ashr_i32 s6, s24, 31
	s_load_dwordx8 s[12:19], s[0:1], 0x90
	s_load_dword s24, s[0:1], 0xb0
	s_load_dwordx4 s[28:31], s[0:1], 0x70
	s_sub_i32 s7, s7, s9
	s_xor_b32 s6, s6, s20
	s_add_i32 s9, s5, 1
	s_waitcnt lgkmcnt(0)
	s_sub_i32 s31, s7, s33
	s_cmp_ge_u32 s7, s33
	s_cselect_b32 s5, s9, s5
	s_cselect_b32 s7, s31, s7
	s_add_i32 s9, s5, 1
	s_cmp_ge_u32 s7, s33
	s_cselect_b32 s5, s9, s5
	s_xor_b32 s5, s5, s6
	s_sub_i32 s31, s5, s6
	s_cmp_gt_i32 s28, 0
	s_cselect_b64 s[44:45], -1, 0
	s_cmp_gt_i32 s29, 0
	s_cselect_b64 s[46:47], -1, 0
	;; [unrolled: 2-line block ×4, first 2 shown]
	s_abs_i32 s65, s10
	v_cvt_f32_u32_e32 v3, s65
	s_abs_i32 s67, s23
	v_cvt_f32_u32_e32 v4, s67
	s_load_dword s64, s[0:1], 0x7c
	v_rcp_iflag_f32_e32 v3, v3
	s_load_dword s5, s[2:3], 0x0
	s_load_dwordx2 s[52:53], s[0:1], 0x1c
	s_load_dwordx2 s[54:55], s[0:1], 0x30
	;; [unrolled: 1-line block ×3, first 2 shown]
	s_load_dwordx4 s[36:39], s[0:1], 0x50
	s_sub_i32 s0, 0, s65
	v_mul_f32_e32 v3, 0x4f7ffffe, v3
	v_cvt_u32_f32_e32 v3, v3
	s_abs_i32 s68, s22
	v_rcp_iflag_f32_e32 v4, v4
	s_abs_i32 s71, s12
	v_mul_lo_u32 v5, s0, v3
	v_mul_hi_u32 v5, v3, v5
	v_add_u32_e32 v14, v3, v5
	v_cvt_f32_u32_e32 v3, s68
	v_mul_f32_e32 v4, 0x4f7ffffe, v4
	v_cvt_u32_f32_e32 v4, v4
	s_sub_i32 s0, 0, s67
	v_rcp_iflag_f32_e32 v3, v3
	s_abs_i32 s73, s13
	v_mul_lo_u32 v5, s0, v4
	v_mul_hi_u32 v5, v4, v5
	v_mul_f32_e32 v3, 0x4f7ffffe, v3
	v_cvt_u32_f32_e32 v3, v3
	v_add_u32_e32 v15, v4, v5
	v_cvt_f32_u32_e32 v5, s71
	s_sub_i32 s0, 0, s68
	v_mul_lo_u32 v4, s0, v3
	v_mul_hi_u32 v4, v3, v4
	v_add_u32_e32 v16, v3, v4
	v_rcp_iflag_f32_e32 v4, v5
	v_mul_lo_u32 v3, s8, v2
	v_mul_hi_u32 v3, v2, v3
	v_add_u32_e32 v17, v2, v3
	v_mul_f32_e32 v2, 0x4f7ffffe, v4
	v_cvt_u32_f32_e32 v2, v2
	s_sub_i32 s0, 0, s71
	v_cvt_f32_u32_e32 v3, s73
	s_abs_i32 s74, s14
	v_mul_lo_u32 v4, s0, v2
	v_mul_hi_u32 v4, v2, v4
	v_add_u32_e32 v18, v2, v4
	v_cvt_f32_u32_e32 v2, s74
	v_rcp_iflag_f32_e32 v3, v3
	s_sub_i32 s0, 0, s73
	s_mov_b32 s41, 0
	v_rcp_iflag_f32_e32 v2, v2
	v_mul_f32_e32 v3, 0x4f7ffffe, v3
	v_cvt_u32_f32_e32 v3, v3
	s_waitcnt lgkmcnt(0)
	s_mul_i32 s40, s5, s4
	v_mul_f32_e32 v2, 0x4f7ffffe, v2
	v_cvt_u32_f32_e32 v2, v2
	v_mul_lo_u32 v4, s0, v3
	v_mul_hi_u32 v4, v3, v4
	s_sub_i32 s0, 0, s74
	v_add_u32_e32 v19, v3, v4
	v_mul_lo_u32 v3, s0, v2
	v_mul_hi_u32 v3, v2, v3
	s_ashr_i32 s66, s10, 31
	s_ashr_i32 s69, s23, 31
	;; [unrolled: 1-line block ×6, first 2 shown]
	v_add_u32_e32 v20, v2, v3
	s_mov_b64 s[58:59], 0
	s_branch .LBB16_4
.LBB16_2:                               ;   in Loop: Header=BB16_4 Depth=1
	s_or_b64 exec, exec, s[60:61]
.LBB16_3:                               ;   in Loop: Header=BB16_4 Depth=1
	v_mul_lo_u32 v4, v24, s11
	v_ashrrev_i32_e32 v5, 31, v4
	v_mul_lo_u32 v6, s36, v25
	v_lshl_add_u64 v[4:5], v[4:5], 3, s[54:55]
	v_ashrrev_i32_e32 v7, 31, v6
	v_lshl_add_u64 v[4:5], v[6:7], 3, v[4:5]
	v_mul_lo_u32 v6, s37, v23
	v_ashrrev_i32_e32 v7, 31, v6
	v_lshl_add_u64 v[4:5], v[6:7], 3, v[4:5]
	v_mul_lo_u32 v6, s38, v22
	;; [unrolled: 3-line block ×3, first 2 shown]
	v_lshl_add_u64 v[0:1], v[0:1], 0, s[40:41]
	v_ashrrev_i32_e32 v7, 31, v6
	v_cmp_le_i64_e32 vcc, s[34:35], v[0:1]
	v_lshl_add_u64 v[4:5], v[6:7], 3, v[4:5]
	s_or_b64 s[58:59], vcc, s[58:59]
	global_store_dwordx2 v[4:5], v[2:3], off
	s_andn2_b64 exec, exec, s[58:59]
	s_cbranch_execz .LBB16_19
.LBB16_4:                               ; =>This Loop Header: Depth=1
                                        ;     Child Loop BB16_7 Depth 2
                                        ;       Child Loop BB16_10 Depth 3
                                        ;         Child Loop BB16_13 Depth 4
                                        ;           Child Loop BB16_16 Depth 5
	v_sub_u32_e32 v3, 0, v0
	v_max_i32_e32 v3, v0, v3
	v_mul_hi_u32 v4, v3, v14
	v_mul_lo_u32 v5, v4, s65
	v_sub_u32_e32 v3, v3, v5
	v_add_u32_e32 v5, 1, v4
	v_cmp_le_u32_e32 vcc, s65, v3
	v_ashrrev_i32_e32 v2, 31, v0
	v_xor_b32_e32 v2, s66, v2
	v_cndmask_b32_e32 v4, v4, v5, vcc
	v_subrev_u32_e32 v5, s65, v3
	v_cndmask_b32_e32 v3, v3, v5, vcc
	v_add_u32_e32 v5, 1, v4
	v_cmp_le_u32_e32 vcc, s65, v3
	s_nop 1
	v_cndmask_b32_e32 v3, v4, v5, vcc
	v_xor_b32_e32 v3, v3, v2
	v_sub_u32_e32 v2, v3, v2
	v_sub_u32_e32 v4, 0, v2
	v_max_i32_e32 v4, v2, v4
	v_mul_hi_u32 v5, v4, v15
	v_mul_lo_u32 v6, v5, s67
	v_sub_u32_e32 v4, v4, v6
	v_add_u32_e32 v6, 1, v5
	v_cmp_le_u32_e32 vcc, s67, v4
	v_mul_lo_u32 v3, v2, s10
	v_sub_u32_e32 v21, v0, v3
	v_cndmask_b32_e32 v5, v5, v6, vcc
	v_subrev_u32_e32 v6, s67, v4
	v_cndmask_b32_e32 v4, v4, v6, vcc
	v_ashrrev_i32_e32 v3, 31, v2
	v_add_u32_e32 v6, 1, v5
	v_cmp_le_u32_e32 vcc, s67, v4
	v_xor_b32_e32 v3, s69, v3
	s_nop 0
	v_cndmask_b32_e32 v4, v5, v6, vcc
	v_xor_b32_e32 v4, v4, v3
	v_sub_u32_e32 v3, v4, v3
	v_mul_lo_u32 v4, v3, s23
	v_sub_u32_e32 v22, v2, v4
	v_sub_u32_e32 v4, 0, v3
	v_max_i32_e32 v4, v3, v4
	v_mul_hi_u32 v5, v4, v16
	v_mul_lo_u32 v6, v5, s68
	v_sub_u32_e32 v4, v4, v6
	v_add_u32_e32 v6, 1, v5
	v_cmp_le_u32_e32 vcc, s68, v4
	v_ashrrev_i32_e32 v2, 31, v3
	v_xor_b32_e32 v2, s70, v2
	v_cndmask_b32_e32 v5, v5, v6, vcc
	v_subrev_u32_e32 v6, s68, v4
	v_cndmask_b32_e32 v4, v4, v6, vcc
	v_add_u32_e32 v6, 1, v5
	v_cmp_le_u32_e32 vcc, s68, v4
	s_nop 1
	v_cndmask_b32_e32 v4, v5, v6, vcc
	v_xor_b32_e32 v4, v4, v2
	v_sub_u32_e32 v2, v4, v2
	v_mul_lo_u32 v4, v2, s22
	v_sub_u32_e32 v23, v3, v4
	v_sub_u32_e32 v4, 0, v2
	v_max_i32_e32 v4, v2, v4
	v_mul_hi_u32 v5, v4, v17
	v_mul_lo_u32 v6, v5, s33
	v_sub_u32_e32 v4, v4, v6
	v_add_u32_e32 v6, 1, v5
	v_cmp_le_u32_e32 vcc, s33, v4
	v_ashrrev_i32_e32 v3, 31, v2
	v_xor_b32_e32 v3, s20, v3
	v_cndmask_b32_e32 v5, v5, v6, vcc
	v_subrev_u32_e32 v6, s33, v4
	v_cndmask_b32_e32 v4, v4, v6, vcc
	v_add_u32_e32 v6, 1, v5
	v_cmp_le_u32_e32 vcc, s33, v4
	s_nop 1
	v_cndmask_b32_e32 v4, v5, v6, vcc
	v_xor_b32_e32 v4, v4, v3
	v_sub_u32_e32 v24, v4, v3
	v_mul_lo_u32 v3, v24, s21
	s_andn2_b64 vcc, exec, s[50:51]
	v_sub_u32_e32 v25, v2, v3
	s_cbranch_vccnz .LBB16_18
; %bb.5:                                ;   in Loop: Header=BB16_4 Depth=1
	v_mul_lo_u32 v29, v25, s31
	v_mul_lo_u32 v2, s64, v29
	v_ashrrev_i32_e32 v3, 31, v2
	v_lshl_add_u64 v[4:5], v[2:3], 3, s[56:57]
	v_mul_lo_u32 v2, s52, v24
	v_ashrrev_i32_e32 v3, 31, v2
	v_add_u32_e32 v26, s17, v21
	v_add_u32_e32 v27, s16, v22
	;; [unrolled: 1-line block ×4, first 2 shown]
	v_lshl_add_u64 v[6:7], v[2:3], 3, s[42:43]
	v_mov_b64_e32 v[2:3], 0
	s_mov_b64 s[60:61], 0
	s_branch .LBB16_7
.LBB16_6:                               ;   in Loop: Header=BB16_7 Depth=2
	v_add_u32_e32 v29, 1, v29
	v_cmp_ge_i32_e32 vcc, v29, v30
	s_or_b64 s[60:61], vcc, s[60:61]
	s_andn2_b64 exec, exec, s[60:61]
	s_cbranch_execz .LBB16_2
.LBB16_7:                               ;   Parent Loop BB16_4 Depth=1
                                        ; =>  This Loop Header: Depth=2
                                        ;       Child Loop BB16_10 Depth 3
                                        ;         Child Loop BB16_13 Depth 4
                                        ;           Child Loop BB16_16 Depth 5
	s_andn2_b64 vcc, exec, s[44:45]
	s_cbranch_vccnz .LBB16_6
; %bb.8:                                ;   in Loop: Header=BB16_7 Depth=2
	v_mul_lo_u32 v8, s53, v29
	v_ashrrev_i32_e32 v9, 31, v8
	v_lshl_add_u64 v[8:9], v[8:9], 3, v[6:7]
	s_mov_b32 s77, 0
	s_branch .LBB16_10
.LBB16_9:                               ;   in Loop: Header=BB16_10 Depth=3
	s_add_i32 s77, s77, 1
	s_cmp_eq_u32 s77, s28
	s_cbranch_scc1 .LBB16_6
.LBB16_10:                              ;   Parent Loop BB16_4 Depth=1
                                        ;     Parent Loop BB16_7 Depth=2
                                        ; =>    This Loop Header: Depth=3
                                        ;         Child Loop BB16_13 Depth 4
                                        ;           Child Loop BB16_16 Depth 5
	s_andn2_b64 vcc, exec, s[46:47]
	s_cbranch_vccnz .LBB16_9
; %bb.11:                               ;   in Loop: Header=BB16_10 Depth=3
	s_mul_i32 s0, s18, s77
	v_subrev_u32_e32 v10, s0, v28
	v_sub_u32_e32 v12, 0, v10
	v_max_i32_e32 v12, v10, v12
	v_mul_hi_u32 v13, v12, v18
	v_mul_lo_u32 v31, v13, s71
	v_sub_u32_e32 v12, v12, v31
	v_add_u32_e32 v31, 1, v13
	v_cmp_le_u32_e32 vcc, s71, v12
	v_ashrrev_i32_e32 v11, 31, v10
	v_xor_b32_e32 v11, s72, v11
	v_cndmask_b32_e32 v13, v13, v31, vcc
	v_subrev_u32_e32 v31, s71, v12
	v_cndmask_b32_e32 v12, v12, v31, vcc
	v_add_u32_e32 v31, 1, v13
	v_cmp_le_u32_e32 vcc, s71, v12
	s_mov_b32 s78, 0
	s_nop 0
	v_cndmask_b32_e32 v12, v13, v31, vcc
	v_xor_b32_e32 v12, v12, v11
	v_sub_u32_e32 v11, v12, v11
	v_cmp_lt_i32_e64 s[0:1], -1, v11
	v_cmp_gt_i32_e64 s[2:3], s25, v11
	v_mul_lo_u32 v31, v11, s26
	v_mul_lo_u32 v11, v11, s12
	v_cmp_eq_u32_e64 s[4:5], v11, v10
	s_branch .LBB16_13
.LBB16_12:                              ;   in Loop: Header=BB16_13 Depth=4
	s_add_i32 s78, s78, 1
	s_cmp_eq_u32 s78, s29
	s_cbranch_scc1 .LBB16_9
.LBB16_13:                              ;   Parent Loop BB16_4 Depth=1
                                        ;     Parent Loop BB16_7 Depth=2
                                        ;       Parent Loop BB16_10 Depth=3
                                        ; =>      This Loop Header: Depth=4
                                        ;           Child Loop BB16_16 Depth 5
	s_andn2_b64 vcc, exec, s[48:49]
	s_cbranch_vccnz .LBB16_12
; %bb.14:                               ;   in Loop: Header=BB16_13 Depth=4
	s_mul_i32 s6, s19, s78
	v_subrev_u32_e32 v10, s6, v27
	v_sub_u32_e32 v12, 0, v10
	v_max_i32_e32 v12, v10, v12
	v_mul_hi_u32 v13, v12, v19
	v_mul_lo_u32 v32, v13, s73
	v_sub_u32_e32 v12, v12, v32
	v_add_u32_e32 v32, 1, v13
	v_cmp_le_u32_e32 vcc, s73, v12
	v_ashrrev_i32_e32 v11, 31, v10
	v_xor_b32_e32 v11, s75, v11
	v_cndmask_b32_e32 v13, v13, v32, vcc
	v_subrev_u32_e32 v32, s73, v12
	v_cndmask_b32_e32 v12, v12, v32, vcc
	v_add_u32_e32 v32, 1, v13
	v_cmp_le_u32_e32 vcc, s73, v12
	s_mov_b32 s79, s30
	v_mov_b32_e32 v33, v26
	v_cndmask_b32_e32 v12, v13, v32, vcc
	v_xor_b32_e32 v12, v12, v11
	v_sub_u32_e32 v11, v12, v11
	v_cmp_lt_i32_e32 vcc, -1, v11
	v_cmp_gt_i32_e64 s[6:7], s26, v11
	v_add_u32_e32 v12, v11, v31
	v_mul_lo_u32 v11, v11, s13
	v_cmp_eq_u32_e64 s[8:9], v11, v10
	v_mul_lo_u32 v32, v12, s27
	s_and_b64 s[62:63], s[4:5], s[8:9]
	s_branch .LBB16_16
.LBB16_15:                              ;   in Loop: Header=BB16_16 Depth=5
	s_or_b64 exec, exec, s[8:9]
	v_mul_lo_u32 v34, v34, s14
	v_cmp_eq_u32_e64 s[8:9], v33, v34
	s_waitcnt vmcnt(0)
	v_fma_f64 v[10:11], v[10:11], v[12:13], v[2:3]
	s_and_b64 s[8:9], s[62:63], s[8:9]
	s_add_i32 s79, s79, -1
	v_lshl_add_u64 v[4:5], v[4:5], 0, 8
	v_cndmask_b32_e64 v3, v3, v11, s[8:9]
	v_cndmask_b32_e64 v2, v2, v10, s[8:9]
	s_cmp_eq_u32 s79, 0
	v_subrev_u32_e32 v33, s24, v33
	s_cbranch_scc1 .LBB16_12
.LBB16_16:                              ;   Parent Loop BB16_4 Depth=1
                                        ;     Parent Loop BB16_7 Depth=2
                                        ;       Parent Loop BB16_10 Depth=3
                                        ;         Parent Loop BB16_13 Depth=4
                                        ; =>        This Inner Loop Header: Depth=5
	global_load_dwordx2 v[10:11], v[4:5], off
	v_sub_u32_e32 v13, 0, v33
	v_max_i32_e32 v13, v33, v13
	v_mul_hi_u32 v34, v13, v20
	v_mul_lo_u32 v35, v34, s74
	v_sub_u32_e32 v13, v13, v35
	v_add_u32_e32 v35, 1, v34
	v_cmp_le_u32_e64 s[8:9], s74, v13
	v_ashrrev_i32_e32 v12, 31, v33
	v_xor_b32_e32 v12, s76, v12
	v_cndmask_b32_e64 v34, v34, v35, s[8:9]
	v_subrev_u32_e32 v35, s74, v13
	v_cndmask_b32_e64 v13, v13, v35, s[8:9]
	v_add_u32_e32 v35, 1, v34
	v_cmp_le_u32_e64 s[8:9], s74, v13
	s_nop 1
	v_cndmask_b32_e64 v13, v34, v35, s[8:9]
	v_xor_b32_e32 v13, v13, v12
	v_sub_u32_e32 v34, v13, v12
	v_cmp_lt_i32_e64 s[8:9], -1, v34
	s_and_b64 s[8:9], s[8:9], vcc
	s_and_b64 s[80:81], s[8:9], s[0:1]
	v_cmp_gt_i32_e64 s[8:9], s27, v34
	s_and_b64 s[8:9], s[8:9], s[80:81]
	s_and_b64 s[8:9], s[8:9], s[6:7]
	s_and_b64 s[80:81], s[8:9], s[2:3]
	v_mov_b64_e32 v[12:13], 0
	s_and_saveexec_b64 s[8:9], s[80:81]
	s_cbranch_execz .LBB16_15
; %bb.17:                               ;   in Loop: Header=BB16_16 Depth=5
	v_add_u32_e32 v12, v34, v32
	v_ashrrev_i32_e32 v13, 31, v12
	v_lshl_add_u64 v[12:13], v[12:13], 3, v[8:9]
	global_load_dwordx2 v[12:13], v[12:13], off
	s_branch .LBB16_15
.LBB16_18:                              ;   in Loop: Header=BB16_4 Depth=1
	v_mov_b64_e32 v[2:3], 0
	s_branch .LBB16_3
.LBB16_19:
	s_endpgm
	.section	.rodata,"a",@progbits
	.p2align	6, 0x0
	.amdhsa_kernel _ZN2at6native12_GLOBAL__N_143conv_depthwise3d_cuda_backward_input_kernelIddLin1ELin1ELin1ELin1ELin1ELin1ELin1ELin1ELin1EEEvN5torch10headeronly6detail27GenericPackedTensorAccessorINS5_14TensorAccessorIN3c108ArrayRefIlEEKT_Lm4ENS4_16DefaultPtrTraitsEiEENS_6detail16IndexBoundsCheckILm5EiEESC_Lm5ESD_iEENS6_INS7_ISA_SB_Lm4ESD_iEESH_SB_Lm5ESD_iEESI_iiiiiiiii
		.amdhsa_group_segment_fixed_size 0
		.amdhsa_private_segment_fixed_size 0
		.amdhsa_kernarg_size 440
		.amdhsa_user_sgpr_count 2
		.amdhsa_user_sgpr_dispatch_ptr 0
		.amdhsa_user_sgpr_queue_ptr 0
		.amdhsa_user_sgpr_kernarg_segment_ptr 1
		.amdhsa_user_sgpr_dispatch_id 0
		.amdhsa_user_sgpr_kernarg_preload_length 0
		.amdhsa_user_sgpr_kernarg_preload_offset 0
		.amdhsa_user_sgpr_private_segment_size 0
		.amdhsa_uses_dynamic_stack 0
		.amdhsa_enable_private_segment 0
		.amdhsa_system_sgpr_workgroup_id_x 1
		.amdhsa_system_sgpr_workgroup_id_y 0
		.amdhsa_system_sgpr_workgroup_id_z 0
		.amdhsa_system_sgpr_workgroup_info 0
		.amdhsa_system_vgpr_workitem_id 0
		.amdhsa_next_free_vgpr 36
		.amdhsa_next_free_sgpr 82
		.amdhsa_accum_offset 36
		.amdhsa_reserve_vcc 1
		.amdhsa_float_round_mode_32 0
		.amdhsa_float_round_mode_16_64 0
		.amdhsa_float_denorm_mode_32 3
		.amdhsa_float_denorm_mode_16_64 3
		.amdhsa_dx10_clamp 1
		.amdhsa_ieee_mode 1
		.amdhsa_fp16_overflow 0
		.amdhsa_tg_split 0
		.amdhsa_exception_fp_ieee_invalid_op 0
		.amdhsa_exception_fp_denorm_src 0
		.amdhsa_exception_fp_ieee_div_zero 0
		.amdhsa_exception_fp_ieee_overflow 0
		.amdhsa_exception_fp_ieee_underflow 0
		.amdhsa_exception_fp_ieee_inexact 0
		.amdhsa_exception_int_div_zero 0
	.end_amdhsa_kernel
	.section	.text._ZN2at6native12_GLOBAL__N_143conv_depthwise3d_cuda_backward_input_kernelIddLin1ELin1ELin1ELin1ELin1ELin1ELin1ELin1ELin1EEEvN5torch10headeronly6detail27GenericPackedTensorAccessorINS5_14TensorAccessorIN3c108ArrayRefIlEEKT_Lm4ENS4_16DefaultPtrTraitsEiEENS_6detail16IndexBoundsCheckILm5EiEESC_Lm5ESD_iEENS6_INS7_ISA_SB_Lm4ESD_iEESH_SB_Lm5ESD_iEESI_iiiiiiiii,"axG",@progbits,_ZN2at6native12_GLOBAL__N_143conv_depthwise3d_cuda_backward_input_kernelIddLin1ELin1ELin1ELin1ELin1ELin1ELin1ELin1ELin1EEEvN5torch10headeronly6detail27GenericPackedTensorAccessorINS5_14TensorAccessorIN3c108ArrayRefIlEEKT_Lm4ENS4_16DefaultPtrTraitsEiEENS_6detail16IndexBoundsCheckILm5EiEESC_Lm5ESD_iEENS6_INS7_ISA_SB_Lm4ESD_iEESH_SB_Lm5ESD_iEESI_iiiiiiiii,comdat
.Lfunc_end16:
	.size	_ZN2at6native12_GLOBAL__N_143conv_depthwise3d_cuda_backward_input_kernelIddLin1ELin1ELin1ELin1ELin1ELin1ELin1ELin1ELin1EEEvN5torch10headeronly6detail27GenericPackedTensorAccessorINS5_14TensorAccessorIN3c108ArrayRefIlEEKT_Lm4ENS4_16DefaultPtrTraitsEiEENS_6detail16IndexBoundsCheckILm5EiEESC_Lm5ESD_iEENS6_INS7_ISA_SB_Lm4ESD_iEESH_SB_Lm5ESD_iEESI_iiiiiiiii, .Lfunc_end16-_ZN2at6native12_GLOBAL__N_143conv_depthwise3d_cuda_backward_input_kernelIddLin1ELin1ELin1ELin1ELin1ELin1ELin1ELin1ELin1EEEvN5torch10headeronly6detail27GenericPackedTensorAccessorINS5_14TensorAccessorIN3c108ArrayRefIlEEKT_Lm4ENS4_16DefaultPtrTraitsEiEENS_6detail16IndexBoundsCheckILm5EiEESC_Lm5ESD_iEENS6_INS7_ISA_SB_Lm4ESD_iEESH_SB_Lm5ESD_iEESI_iiiiiiiii
                                        ; -- End function
	.set _ZN2at6native12_GLOBAL__N_143conv_depthwise3d_cuda_backward_input_kernelIddLin1ELin1ELin1ELin1ELin1ELin1ELin1ELin1ELin1EEEvN5torch10headeronly6detail27GenericPackedTensorAccessorINS5_14TensorAccessorIN3c108ArrayRefIlEEKT_Lm4ENS4_16DefaultPtrTraitsEiEENS_6detail16IndexBoundsCheckILm5EiEESC_Lm5ESD_iEENS6_INS7_ISA_SB_Lm4ESD_iEESH_SB_Lm5ESD_iEESI_iiiiiiiii.num_vgpr, 36
	.set _ZN2at6native12_GLOBAL__N_143conv_depthwise3d_cuda_backward_input_kernelIddLin1ELin1ELin1ELin1ELin1ELin1ELin1ELin1ELin1EEEvN5torch10headeronly6detail27GenericPackedTensorAccessorINS5_14TensorAccessorIN3c108ArrayRefIlEEKT_Lm4ENS4_16DefaultPtrTraitsEiEENS_6detail16IndexBoundsCheckILm5EiEESC_Lm5ESD_iEENS6_INS7_ISA_SB_Lm4ESD_iEESH_SB_Lm5ESD_iEESI_iiiiiiiii.num_agpr, 0
	.set _ZN2at6native12_GLOBAL__N_143conv_depthwise3d_cuda_backward_input_kernelIddLin1ELin1ELin1ELin1ELin1ELin1ELin1ELin1ELin1EEEvN5torch10headeronly6detail27GenericPackedTensorAccessorINS5_14TensorAccessorIN3c108ArrayRefIlEEKT_Lm4ENS4_16DefaultPtrTraitsEiEENS_6detail16IndexBoundsCheckILm5EiEESC_Lm5ESD_iEENS6_INS7_ISA_SB_Lm4ESD_iEESH_SB_Lm5ESD_iEESI_iiiiiiiii.numbered_sgpr, 82
	.set _ZN2at6native12_GLOBAL__N_143conv_depthwise3d_cuda_backward_input_kernelIddLin1ELin1ELin1ELin1ELin1ELin1ELin1ELin1ELin1EEEvN5torch10headeronly6detail27GenericPackedTensorAccessorINS5_14TensorAccessorIN3c108ArrayRefIlEEKT_Lm4ENS4_16DefaultPtrTraitsEiEENS_6detail16IndexBoundsCheckILm5EiEESC_Lm5ESD_iEENS6_INS7_ISA_SB_Lm4ESD_iEESH_SB_Lm5ESD_iEESI_iiiiiiiii.num_named_barrier, 0
	.set _ZN2at6native12_GLOBAL__N_143conv_depthwise3d_cuda_backward_input_kernelIddLin1ELin1ELin1ELin1ELin1ELin1ELin1ELin1ELin1EEEvN5torch10headeronly6detail27GenericPackedTensorAccessorINS5_14TensorAccessorIN3c108ArrayRefIlEEKT_Lm4ENS4_16DefaultPtrTraitsEiEENS_6detail16IndexBoundsCheckILm5EiEESC_Lm5ESD_iEENS6_INS7_ISA_SB_Lm4ESD_iEESH_SB_Lm5ESD_iEESI_iiiiiiiii.private_seg_size, 0
	.set _ZN2at6native12_GLOBAL__N_143conv_depthwise3d_cuda_backward_input_kernelIddLin1ELin1ELin1ELin1ELin1ELin1ELin1ELin1ELin1EEEvN5torch10headeronly6detail27GenericPackedTensorAccessorINS5_14TensorAccessorIN3c108ArrayRefIlEEKT_Lm4ENS4_16DefaultPtrTraitsEiEENS_6detail16IndexBoundsCheckILm5EiEESC_Lm5ESD_iEENS6_INS7_ISA_SB_Lm4ESD_iEESH_SB_Lm5ESD_iEESI_iiiiiiiii.uses_vcc, 1
	.set _ZN2at6native12_GLOBAL__N_143conv_depthwise3d_cuda_backward_input_kernelIddLin1ELin1ELin1ELin1ELin1ELin1ELin1ELin1ELin1EEEvN5torch10headeronly6detail27GenericPackedTensorAccessorINS5_14TensorAccessorIN3c108ArrayRefIlEEKT_Lm4ENS4_16DefaultPtrTraitsEiEENS_6detail16IndexBoundsCheckILm5EiEESC_Lm5ESD_iEENS6_INS7_ISA_SB_Lm4ESD_iEESH_SB_Lm5ESD_iEESI_iiiiiiiii.uses_flat_scratch, 0
	.set _ZN2at6native12_GLOBAL__N_143conv_depthwise3d_cuda_backward_input_kernelIddLin1ELin1ELin1ELin1ELin1ELin1ELin1ELin1ELin1EEEvN5torch10headeronly6detail27GenericPackedTensorAccessorINS5_14TensorAccessorIN3c108ArrayRefIlEEKT_Lm4ENS4_16DefaultPtrTraitsEiEENS_6detail16IndexBoundsCheckILm5EiEESC_Lm5ESD_iEENS6_INS7_ISA_SB_Lm4ESD_iEESH_SB_Lm5ESD_iEESI_iiiiiiiii.has_dyn_sized_stack, 0
	.set _ZN2at6native12_GLOBAL__N_143conv_depthwise3d_cuda_backward_input_kernelIddLin1ELin1ELin1ELin1ELin1ELin1ELin1ELin1ELin1EEEvN5torch10headeronly6detail27GenericPackedTensorAccessorINS5_14TensorAccessorIN3c108ArrayRefIlEEKT_Lm4ENS4_16DefaultPtrTraitsEiEENS_6detail16IndexBoundsCheckILm5EiEESC_Lm5ESD_iEENS6_INS7_ISA_SB_Lm4ESD_iEESH_SB_Lm5ESD_iEESI_iiiiiiiii.has_recursion, 0
	.set _ZN2at6native12_GLOBAL__N_143conv_depthwise3d_cuda_backward_input_kernelIddLin1ELin1ELin1ELin1ELin1ELin1ELin1ELin1ELin1EEEvN5torch10headeronly6detail27GenericPackedTensorAccessorINS5_14TensorAccessorIN3c108ArrayRefIlEEKT_Lm4ENS4_16DefaultPtrTraitsEiEENS_6detail16IndexBoundsCheckILm5EiEESC_Lm5ESD_iEENS6_INS7_ISA_SB_Lm4ESD_iEESH_SB_Lm5ESD_iEESI_iiiiiiiii.has_indirect_call, 0
	.section	.AMDGPU.csdata,"",@progbits
; Kernel info:
; codeLenInByte = 1908
; TotalNumSgprs: 88
; NumVgprs: 36
; NumAgprs: 0
; TotalNumVgprs: 36
; ScratchSize: 0
; MemoryBound: 0
; FloatMode: 240
; IeeeMode: 1
; LDSByteSize: 0 bytes/workgroup (compile time only)
; SGPRBlocks: 10
; VGPRBlocks: 4
; NumSGPRsForWavesPerEU: 88
; NumVGPRsForWavesPerEU: 36
; AccumOffset: 36
; Occupancy: 8
; WaveLimiterHint : 0
; COMPUTE_PGM_RSRC2:SCRATCH_EN: 0
; COMPUTE_PGM_RSRC2:USER_SGPR: 2
; COMPUTE_PGM_RSRC2:TRAP_HANDLER: 0
; COMPUTE_PGM_RSRC2:TGID_X_EN: 1
; COMPUTE_PGM_RSRC2:TGID_Y_EN: 0
; COMPUTE_PGM_RSRC2:TGID_Z_EN: 0
; COMPUTE_PGM_RSRC2:TIDIG_COMP_CNT: 0
; COMPUTE_PGM_RSRC3_GFX90A:ACCUM_OFFSET: 8
; COMPUTE_PGM_RSRC3_GFX90A:TG_SPLIT: 0
	.section	.text._ZN2at6native12_GLOBAL__N_143conv_depthwise3d_cuda_backward_input_kernelIffLi3ELi3ELi3ELi1ELi1ELi1ELi1ELi1ELi1EEEvN5torch10headeronly6detail27GenericPackedTensorAccessorINS5_14TensorAccessorIN3c108ArrayRefIlEEKT_Lm4ENS4_16DefaultPtrTraitsEiEENS_6detail16IndexBoundsCheckILm5EiEESC_Lm5ESD_iEENS6_INS7_ISA_SB_Lm4ESD_iEESH_SB_Lm5ESD_iEESI_iiiiiiiii,"axG",@progbits,_ZN2at6native12_GLOBAL__N_143conv_depthwise3d_cuda_backward_input_kernelIffLi3ELi3ELi3ELi1ELi1ELi1ELi1ELi1ELi1EEEvN5torch10headeronly6detail27GenericPackedTensorAccessorINS5_14TensorAccessorIN3c108ArrayRefIlEEKT_Lm4ENS4_16DefaultPtrTraitsEiEENS_6detail16IndexBoundsCheckILm5EiEESC_Lm5ESD_iEENS6_INS7_ISA_SB_Lm4ESD_iEESH_SB_Lm5ESD_iEESI_iiiiiiiii,comdat
	.globl	_ZN2at6native12_GLOBAL__N_143conv_depthwise3d_cuda_backward_input_kernelIffLi3ELi3ELi3ELi1ELi1ELi1ELi1ELi1ELi1EEEvN5torch10headeronly6detail27GenericPackedTensorAccessorINS5_14TensorAccessorIN3c108ArrayRefIlEEKT_Lm4ENS4_16DefaultPtrTraitsEiEENS_6detail16IndexBoundsCheckILm5EiEESC_Lm5ESD_iEENS6_INS7_ISA_SB_Lm4ESD_iEESH_SB_Lm5ESD_iEESI_iiiiiiiii ; -- Begin function _ZN2at6native12_GLOBAL__N_143conv_depthwise3d_cuda_backward_input_kernelIffLi3ELi3ELi3ELi1ELi1ELi1ELi1ELi1ELi1EEEvN5torch10headeronly6detail27GenericPackedTensorAccessorINS5_14TensorAccessorIN3c108ArrayRefIlEEKT_Lm4ENS4_16DefaultPtrTraitsEiEENS_6detail16IndexBoundsCheckILm5EiEESC_Lm5ESD_iEENS6_INS7_ISA_SB_Lm4ESD_iEESH_SB_Lm5ESD_iEESI_iiiiiiiii
	.p2align	8
	.type	_ZN2at6native12_GLOBAL__N_143conv_depthwise3d_cuda_backward_input_kernelIffLi3ELi3ELi3ELi1ELi1ELi1ELi1ELi1ELi1EEEvN5torch10headeronly6detail27GenericPackedTensorAccessorINS5_14TensorAccessorIN3c108ArrayRefIlEEKT_Lm4ENS4_16DefaultPtrTraitsEiEENS_6detail16IndexBoundsCheckILm5EiEESC_Lm5ESD_iEENS6_INS7_ISA_SB_Lm4ESD_iEESH_SB_Lm5ESD_iEESI_iiiiiiiii,@function
_ZN2at6native12_GLOBAL__N_143conv_depthwise3d_cuda_backward_input_kernelIffLi3ELi3ELi3ELi1ELi1ELi1ELi1ELi1ELi1EEEvN5torch10headeronly6detail27GenericPackedTensorAccessorINS5_14TensorAccessorIN3c108ArrayRefIlEEKT_Lm4ENS4_16DefaultPtrTraitsEiEENS_6detail16IndexBoundsCheckILm5EiEESC_Lm5ESD_iEENS6_INS7_ISA_SB_Lm4ESD_iEESH_SB_Lm5ESD_iEESI_iiiiiiiii: ; @_ZN2at6native12_GLOBAL__N_143conv_depthwise3d_cuda_backward_input_kernelIffLi3ELi3ELi3ELi1ELi1ELi1ELi1ELi1ELi1EEEvN5torch10headeronly6detail27GenericPackedTensorAccessorINS5_14TensorAccessorIN3c108ArrayRefIlEEKT_Lm4ENS4_16DefaultPtrTraitsEiEENS_6detail16IndexBoundsCheckILm5EiEESC_Lm5ESD_iEENS6_INS7_ISA_SB_Lm4ESD_iEESH_SB_Lm5ESD_iEESI_iiiiiiiii
; %bb.0:
	s_load_dwordx4 s[12:15], s[0:1], 0x38
	s_load_dwordx2 s[28:29], s[0:1], 0x48
	s_load_dword s4, s[0:1], 0xc4
	v_mov_b32_e32 v3, s2
	v_mov_b32_e32 v1, 0
	s_waitcnt lgkmcnt(0)
	s_abs_i32 s33, s13
	v_cvt_f32_u32_e32 v2, s33
	s_add_u32 s2, s0, 0xb8
	s_mul_i32 s30, s29, s12
	s_addc_u32 s3, s1, 0
	v_rcp_iflag_f32_e32 v2, v2
	s_and_b32 s4, s4, 0xffff
	s_ashr_i32 s31, s30, 31
	v_mad_u64_u32 v[0:1], s[6:7], s4, v3, v[0:1]
	v_mul_f32_e32 v2, 0x4f7ffffe, v2
	v_cvt_u32_f32_e32 v2, v2
	v_cmp_gt_i64_e32 vcc, s[30:31], v[0:1]
	v_readfirstlane_b32 s5, v2
	s_and_saveexec_b64 s[6:7], vcc
	s_cbranch_execz .LBB17_62
; %bb.1:
	s_load_dwordx4 s[16:19], s[0:1], 0xc
	s_load_dwordx2 s[6:7], s[0:1], 0x0
	s_sub_i32 s8, 0, s33
                                        ; implicit-def: $vgpr127 : SGPR spill to VGPR lane
	s_mul_i32 s9, s8, s5
	s_mul_hi_u32 s9, s5, s9
	s_add_i32 s5, s5, s9
	s_waitcnt lgkmcnt(0)
	v_writelane_b32 v127, s6, 0
	s_ashr_i32 s12, s13, 31
	s_load_dwordx4 s[20:23], s[0:1], 0x9c
	v_writelane_b32 v127, s7, 1
	s_abs_i32 s7, s16
	s_mul_hi_u32 s5, s7, s5
	s_mul_i32 s9, s5, s33
	s_ashr_i32 s6, s16, 31
	s_sub_i32 s7, s7, s9
	s_xor_b32 s6, s6, s12
	s_add_i32 s9, s5, 1
	s_sub_i32 s10, s7, s33
	s_cmp_ge_u32 s7, s33
	s_cselect_b32 s5, s9, s5
	s_cselect_b32 s7, s10, s7
	s_add_i32 s9, s5, 1
	s_cmp_ge_u32 s7, s33
	s_cselect_b32 s5, s9, s5
	s_xor_b32 s5, s5, s6
	s_sub_i32 s16, s5, s6
	s_cmp_gt_i32 s16, 0
	s_load_dword s5, s[2:3], 0x0
	s_cselect_b64 s[2:3], -1, 0
	s_abs_i32 s94, s28
	v_cvt_f32_u32_e32 v3, s94
	s_waitcnt lgkmcnt(0)
	s_load_dword s23, s[0:1], 0x7c
	s_load_dwordx2 s[38:39], s[0:1], 0x1c
	s_load_dwordx2 s[40:41], s[0:1], 0x30
	s_load_dwordx2 s[42:43], s[0:1], 0x60
	s_load_dwordx4 s[24:27], s[0:1], 0x50
	s_abs_i32 s96, s15
	v_rcp_iflag_f32_e32 v3, v3
	s_sub_i32 s0, 0, s94
	v_cvt_f32_u32_e32 v4, s96
	s_abs_i32 s97, s14
	v_mul_f32_e32 v3, 0x4f7ffffe, v3
	v_cvt_u32_f32_e32 v3, v3
	v_rcp_iflag_f32_e32 v4, v4
	s_mov_b32 s35, 0
	s_mul_i32 s34, s5, s4
	v_mul_lo_u32 v5, s0, v3
	v_mul_hi_u32 v5, v3, v5
	v_add_u32_e32 v3, v3, v5
	scratch_store_dword off, v3, off        ; 4-byte Folded Spill
	v_cvt_f32_u32_e32 v3, s97
	v_mul_f32_e32 v4, 0x4f7ffffe, v4
	v_cvt_u32_f32_e32 v4, v4
	s_sub_i32 s0, 0, s96
	v_rcp_iflag_f32_e32 v3, v3
	s_ashr_i32 s95, s28, 31
	v_mul_lo_u32 v5, s0, v4
	v_mul_hi_u32 v5, v4, v5
	v_mul_f32_e32 v3, 0x4f7ffffe, v3
	v_cvt_u32_f32_e32 v3, v3
	v_add_u32_e32 v4, v4, v5
	s_sub_i32 s0, 0, s97
	scratch_store_dword off, v4, off offset:4 ; 4-byte Folded Spill
	v_mul_lo_u32 v4, s0, v3
	v_mul_hi_u32 v4, v3, v4
	v_add_u32_e32 v66, v3, v4
	v_mul_lo_u32 v3, s8, v2
	v_mul_hi_u32 v3, v2, v3
	v_add_u32_e32 v67, v2, v3
	v_cndmask_b32_e64 v2, 0, 1, s[2:3]
	s_ashr_i32 s98, s15, 31
	s_ashr_i32 s99, s14, 31
	s_mov_b64 s[44:45], 0
	v_cmp_ne_u32_e64 s[0:1], 1, v2
	s_branch .LBB17_4
.LBB17_2:                               ;   in Loop: Header=BB17_4 Depth=1
	s_or_b64 exec, exec, s[90:91]
.LBB17_3:                               ;   in Loop: Header=BB17_4 Depth=1
	v_mul_lo_u32 v2, v72, s29
	v_ashrrev_i32_e32 v3, 31, v2
	s_waitcnt lgkmcnt(0)
	v_mul_lo_u32 v4, s24, v71
	v_lshl_add_u64 v[2:3], v[2:3], 2, s[40:41]
	v_ashrrev_i32_e32 v5, 31, v4
	v_lshl_add_u64 v[2:3], v[4:5], 2, v[2:3]
	v_mul_lo_u32 v4, s25, v70
	v_ashrrev_i32_e32 v5, 31, v4
	v_lshl_add_u64 v[2:3], v[4:5], 2, v[2:3]
	v_mul_lo_u32 v4, s26, v69
	;; [unrolled: 3-line block ×3, first 2 shown]
	v_lshl_add_u64 v[0:1], v[0:1], 0, s[34:35]
	v_ashrrev_i32_e32 v5, 31, v4
	v_cmp_le_i64_e32 vcc, s[30:31], v[0:1]
	v_lshl_add_u64 v[2:3], v[4:5], 2, v[2:3]
	s_or_b64 s[44:45], vcc, s[44:45]
	global_store_dword v[2:3], v74, off
	s_andn2_b64 exec, exec, s[44:45]
	s_cbranch_execz .LBB17_62
.LBB17_4:                               ; =>This Loop Header: Depth=1
                                        ;     Child Loop BB17_7 Depth 2
	scratch_load_dword v4, off, off         ; 4-byte Folded Reload
	v_sub_u32_e32 v3, 0, v0
	v_max_i32_e32 v3, v0, v3
	v_ashrrev_i32_e32 v2, 31, v0
	v_xor_b32_e32 v2, s95, v2
	s_waitcnt vmcnt(0)
	v_mul_hi_u32 v4, v3, v4
	v_mul_lo_u32 v5, v4, s94
	v_sub_u32_e32 v3, v3, v5
	v_add_u32_e32 v5, 1, v4
	v_cmp_le_u32_e32 vcc, s94, v3
	s_nop 1
	v_cndmask_b32_e32 v4, v4, v5, vcc
	v_subrev_u32_e32 v5, s94, v3
	v_cndmask_b32_e32 v3, v3, v5, vcc
	v_add_u32_e32 v5, 1, v4
	v_cmp_le_u32_e32 vcc, s94, v3
	s_nop 1
	v_cndmask_b32_e32 v3, v4, v5, vcc
	scratch_load_dword v5, off, off offset:4 ; 4-byte Folded Reload
	v_xor_b32_e32 v3, v3, v2
	v_sub_u32_e32 v2, v3, v2
	v_sub_u32_e32 v4, 0, v2
	v_max_i32_e32 v4, v2, v4
	v_mul_lo_u32 v3, v2, s28
	v_sub_u32_e32 v68, v0, v3
	v_ashrrev_i32_e32 v3, 31, v2
	v_xor_b32_e32 v3, s98, v3
	s_waitcnt vmcnt(0)
	v_mul_hi_u32 v5, v4, v5
	v_mul_lo_u32 v6, v5, s96
	v_sub_u32_e32 v4, v4, v6
	v_add_u32_e32 v6, 1, v5
	v_cmp_le_u32_e32 vcc, s96, v4
	s_nop 1
	v_cndmask_b32_e32 v5, v5, v6, vcc
	v_subrev_u32_e32 v6, s96, v4
	v_cndmask_b32_e32 v4, v4, v6, vcc
	v_add_u32_e32 v6, 1, v5
	v_cmp_le_u32_e32 vcc, s96, v4
	s_nop 1
	v_cndmask_b32_e32 v4, v5, v6, vcc
	v_xor_b32_e32 v4, v4, v3
	v_sub_u32_e32 v3, v4, v3
	v_mul_lo_u32 v4, v3, s15
	v_sub_u32_e32 v69, v2, v4
	v_sub_u32_e32 v4, 0, v3
	v_max_i32_e32 v4, v3, v4
	v_mul_hi_u32 v5, v4, v66
	v_mul_lo_u32 v6, v5, s97
	v_sub_u32_e32 v4, v4, v6
	v_add_u32_e32 v6, 1, v5
	v_cmp_le_u32_e32 vcc, s97, v4
	v_ashrrev_i32_e32 v2, 31, v3
	v_xor_b32_e32 v2, s99, v2
	v_cndmask_b32_e32 v5, v5, v6, vcc
	v_subrev_u32_e32 v6, s97, v4
	v_cndmask_b32_e32 v4, v4, v6, vcc
	v_add_u32_e32 v6, 1, v5
	v_cmp_le_u32_e32 vcc, s97, v4
	s_nop 1
	v_cndmask_b32_e32 v4, v5, v6, vcc
	v_xor_b32_e32 v4, v4, v2
	v_sub_u32_e32 v2, v4, v2
	v_mul_lo_u32 v4, v2, s14
	v_sub_u32_e32 v70, v3, v4
	v_sub_u32_e32 v4, 0, v2
	v_max_i32_e32 v4, v2, v4
	v_mul_hi_u32 v5, v4, v67
	v_mul_lo_u32 v6, v5, s33
	v_sub_u32_e32 v4, v4, v6
	v_add_u32_e32 v6, 1, v5
	v_cmp_le_u32_e32 vcc, s33, v4
	v_ashrrev_i32_e32 v3, 31, v2
	v_xor_b32_e32 v3, s12, v3
	v_cndmask_b32_e32 v5, v5, v6, vcc
	v_subrev_u32_e32 v6, s33, v4
	v_cndmask_b32_e32 v4, v4, v6, vcc
	v_add_u32_e32 v6, 1, v5
	v_cmp_le_u32_e32 vcc, s33, v4
	s_nop 1
	v_cndmask_b32_e32 v4, v5, v6, vcc
	v_xor_b32_e32 v4, v4, v3
	v_sub_u32_e32 v72, v4, v3
	v_mul_lo_u32 v3, v72, s13
	s_and_b64 vcc, exec, s[0:1]
	v_sub_u32_e32 v71, v2, v3
	s_cbranch_vccnz .LBB17_61
; %bb.5:                                ;   in Loop: Header=BB17_4 Depth=1
	v_add_u32_e32 v5, s20, v70
	v_add_u32_e32 v7, s21, v69
	v_mul_lo_u32 v9, v5, s18
	v_add_u32_e32 v54, s22, v68
	v_add_u32_e32 v2, v7, v9
	v_mul_lo_u32 v6, v2, s19
	v_or_b32_e32 v2, v54, v7
	v_add_u32_e32 v15, -2, v5
	v_add_u32_e32 v19, -1, v5
	v_cmp_gt_i32_e64 s[2:3], s18, v7
	v_or_b32_e32 v17, v2, v15
	v_or_b32_e32 v20, v2, v19
	;; [unrolled: 1-line block ×3, first 2 shown]
	v_cmp_gt_i32_e64 s[6:7], s19, v54
	v_add_u32_e32 v56, -1, v54
	v_cmp_lt_i32_e64 s[4:5], -1, v2
	s_and_b64 s[76:77], s[6:7], s[2:3]
	v_or_b32_e32 v4, v56, v7
	v_cmp_gt_i32_e32 vcc, s17, v5
	s_and_b64 s[4:5], s[76:77], s[4:5]
	v_or_b32_e32 v21, v4, v15
	v_or_b32_e32 v22, v4, v19
	;; [unrolled: 1-line block ×3, first 2 shown]
	v_cmp_gt_i32_e64 s[8:9], s19, v56
	v_add_u32_e32 v58, -2, v54
	s_and_b64 s[46:47], s[4:5], vcc
	v_cmp_lt_i32_e64 s[4:5], -1, v4
	s_and_b64 s[78:79], s[8:9], s[2:3]
	v_or_b32_e32 v14, v58, v7
	s_and_b64 s[4:5], s[78:79], s[4:5]
	v_or_b32_e32 v23, v14, v15
	v_or_b32_e32 v24, v14, v19
	;; [unrolled: 1-line block ×3, first 2 shown]
	v_cmp_gt_i32_e64 s[10:11], s19, v58
	v_add_u32_e32 v13, -1, v7
	s_and_b64 s[48:49], s[4:5], vcc
	v_cmp_lt_i32_e64 s[4:5], -1, v14
	s_and_b64 s[80:81], s[10:11], s[2:3]
	v_or_b32_e32 v8, v54, v13
	s_and_b64 s[2:3], s[80:81], s[4:5]
	s_and_b64 s[50:51], s[2:3], vcc
	v_cmp_gt_i32_e64 s[2:3], s18, v13
	v_or_b32_e32 v25, v8, v15
	v_or_b32_e32 v26, v8, v19
	v_or_b32_e32 v8, v8, v5
	v_or_b32_e32 v10, v56, v13
	v_cmp_lt_i32_e64 s[4:5], -1, v8
	s_and_b64 s[84:85], s[6:7], s[2:3]
	s_and_b64 s[4:5], s[84:85], s[4:5]
	v_or_b32_e32 v27, v10, v15
	v_or_b32_e32 v28, v10, v19
	;; [unrolled: 1-line block ×4, first 2 shown]
	s_and_b64 s[52:53], s[4:5], vcc
	v_cmp_lt_i32_e64 s[4:5], -1, v10
	s_and_b64 s[86:87], s[8:9], s[2:3]
	s_and_b64 s[4:5], s[86:87], s[4:5]
	v_or_b32_e32 v29, v12, v15
	v_or_b32_e32 v30, v12, v19
	;; [unrolled: 1-line block ×3, first 2 shown]
	v_add_u32_e32 v3, -2, v7
	s_and_b64 s[54:55], s[4:5], vcc
	v_cmp_lt_i32_e64 s[4:5], -1, v12
	s_and_b64 s[82:83], s[10:11], s[2:3]
	v_or_b32_e32 v11, v54, v3
	s_and_b64 s[2:3], s[82:83], s[4:5]
	s_and_b64 s[56:57], s[2:3], vcc
	v_cmp_gt_i32_e64 s[2:3], s18, v3
	v_or_b32_e32 v33, v11, v15
	v_or_b32_e32 v32, v11, v19
	;; [unrolled: 1-line block ×4, first 2 shown]
	v_cmp_lt_i32_e64 s[4:5], -1, v11
	s_and_b64 s[88:89], s[6:7], s[2:3]
	s_and_b64 s[4:5], s[88:89], s[4:5]
	v_or_b32_e32 v11, v16, v15
	v_or_b32_e32 v34, v16, v19
	;; [unrolled: 1-line block ×4, first 2 shown]
	s_and_b64 s[6:7], s[4:5], vcc
	v_cmp_lt_i32_e64 s[4:5], -1, v16
	s_and_b64 s[90:91], s[8:9], s[2:3]
	s_and_b64 s[4:5], s[90:91], s[4:5]
	v_or_b32_e32 v5, v18, v5
	s_and_b64 s[8:9], s[4:5], vcc
	v_cmp_lt_i32_e64 s[4:5], -1, v5
	s_and_b64 s[92:93], s[10:11], s[2:3]
	s_and_b64 s[2:3], s[92:93], s[4:5]
	s_and_b64 s[10:11], s[2:3], vcc
	v_cmp_lt_i32_e64 s[2:3], -1, v20
	v_cmp_gt_i32_e32 vcc, s17, v19
	s_and_b64 s[2:3], s[76:77], s[2:3]
	s_and_b64 s[58:59], s[2:3], vcc
	v_cmp_lt_i32_e64 s[2:3], -1, v22
	s_and_b64 s[2:3], s[78:79], s[2:3]
	s_and_b64 s[60:61], s[2:3], vcc
	v_cmp_lt_i32_e64 s[2:3], -1, v24
	;; [unrolled: 3-line block ×6, first 2 shown]
	s_and_b64 s[2:3], s[88:89], s[2:3]
	v_or_b32_e32 v36, v18, v19
	s_and_b64 s[70:71], s[2:3], vcc
	v_cmp_lt_i32_e64 s[2:3], -1, v34
	v_add_u32_e32 v14, v13, v9
	v_cmp_lt_i32_e64 s[4:5], -1, v36
	s_and_b64 s[2:3], s[90:91], s[2:3]
	v_mul_lo_u32 v14, v14, s19
	v_subrev_u32_e32 v5, s18, v9
	s_and_b64 s[72:73], s[2:3], vcc
	s_and_b64 s[2:3], s[92:93], s[4:5]
	v_add_u32_e32 v8, v54, v14
	v_add_u32_e32 v10, v56, v14
	;; [unrolled: 1-line block ×5, first 2 shown]
	s_and_b64 s[74:75], s[2:3], vcc
	v_cmp_lt_i32_e64 s[2:3], -1, v17
	v_mul_lo_u32 v9, v9, s19
	s_and_b64 s[76:77], s[76:77], s[2:3]
	v_cmp_lt_i32_e64 s[2:3], -1, v21
	v_add_u32_e32 v20, v54, v9
	v_add_u32_e32 v22, v56, v9
	;; [unrolled: 1-line block ×4, first 2 shown]
	s_and_b64 s[78:79], s[78:79], s[2:3]
	v_cmp_lt_i32_e64 s[2:3], -1, v23
	v_mul_lo_u32 v9, v9, s19
	s_and_b64 s[80:81], s[80:81], s[2:3]
	v_cmp_lt_i32_e64 s[2:3], -1, v25
	v_add_u32_e32 v26, v54, v9
	v_add_u32_e32 v28, v56, v9
	v_add_u32_e32 v30, v58, v9
	v_add_u32_e32 v9, v3, v5
	s_and_b64 s[84:85], s[84:85], s[2:3]
	v_cmp_lt_i32_e64 s[2:3], -1, v27
	v_mul_lo_u32 v9, v9, s19
	v_subrev_u32_e32 v5, s18, v5
	s_and_b64 s[86:87], s[86:87], s[2:3]
	v_cmp_lt_i32_e64 s[2:3], -1, v29
	v_mul_lo_u32 v73, v71, s16
	s_waitcnt lgkmcnt(0)
	v_mul_lo_u32 v50, s38, v72
	v_or_b32_e32 v35, v18, v15
	v_add_u32_e32 v32, v54, v9
	v_add_u32_e32 v34, v56, v9
	;; [unrolled: 1-line block ×6, first 2 shown]
	s_and_b64 s[36:37], s[82:83], s[2:3]
	v_cmp_lt_i32_e64 s[2:3], -1, v33
	v_readlane_b32 s82, v127, 0
	v_mul_lo_u32 v48, s23, v73
	v_mul_lo_u32 v31, v14, s19
	v_cmp_gt_i32_e32 vcc, s17, v15
	v_mul_lo_u32 v7, v7, s19
	v_mul_lo_u32 v52, v9, s19
	s_and_b64 s[88:89], s[88:89], s[2:3]
	v_cmp_lt_i32_e64 s[2:3], -1, v11
	v_cmp_lt_i32_e64 s[4:5], -1, v35
	v_ashrrev_i32_e32 v51, 31, v50
	v_readlane_b32 s83, v127, 1
	v_mul_lo_u32 v59, v55, s19
	v_add_u32_e32 v2, v54, v6
	v_add_u32_e32 v4, v56, v6
	;; [unrolled: 1-line block ×11, first 2 shown]
	v_ashrrev_i32_e32 v49, 31, v48
	v_lshl_add_u64 v[50:51], v[50:51], 2, s[82:83]
	s_and_b64 s[82:83], s[84:85], vcc
	s_and_b64 s[84:85], s[86:87], vcc
	;; [unrolled: 1-line block ×3, first 2 shown]
	v_add_u32_e32 v52, v58, v52
	v_add_u32_e32 v54, v54, v59
	s_and_b64 s[2:3], s[90:91], s[2:3]
	v_add_u32_e32 v56, v56, v59
	s_and_b64 s[4:5], s[92:93], s[4:5]
	v_add_u32_e32 v58, v58, v59
	s_mul_i32 s36, s39, s16
	v_lshl_add_u64 v[48:49], v[48:49], 2, s[42:43]
	v_ashrrev_i32_e32 v3, 31, v2
	v_ashrrev_i32_e32 v5, 31, v4
	;; [unrolled: 1-line block ×18, first 2 shown]
	s_and_b64 s[76:77], s[76:77], vcc
	v_ashrrev_i32_e32 v39, 31, v38
	s_and_b64 s[78:79], s[78:79], vcc
	v_ashrrev_i32_e32 v41, 31, v40
	;; [unrolled: 2-line block ×3, first 2 shown]
	v_ashrrev_i32_e32 v45, 31, v44
	v_ashrrev_i32_e32 v47, 31, v46
	;; [unrolled: 1-line block ×3, first 2 shown]
	s_and_b64 s[88:89], s[88:89], vcc
	v_ashrrev_i32_e32 v55, 31, v54
	s_and_b64 s[2:3], s[2:3], vcc
	v_ashrrev_i32_e32 v57, 31, v56
	;; [unrolled: 2-line block ×3, first 2 shown]
	s_mov_b64 s[90:91], 0
	v_add_u32_e32 v75, s16, v73
	v_mov_b32_e32 v74, 0
	v_mul_lo_u32 v60, s36, v71
	s_branch .LBB17_7
.LBB17_6:                               ;   in Loop: Header=BB17_7 Depth=2
	s_or_b64 exec, exec, s[92:93]
	s_waitcnt vmcnt(26)
	v_fmac_f32_e32 v74, v76, v61
	s_waitcnt vmcnt(25)
	v_fmac_f32_e32 v74, v77, v79
	;; [unrolled: 2-line block ×25, first 2 shown]
	v_add_u32_e32 v73, 1, v73
	s_waitcnt vmcnt(1)
	v_fmac_f32_e32 v74, v125, v64
	s_mov_b64 s[36:37], 0x6c
	v_cmp_ge_i32_e32 vcc, v73, v75
	s_waitcnt vmcnt(0)
	v_fmac_f32_e32 v74, v65, v126
	v_lshl_add_u64 v[48:49], v[48:49], 0, s[36:37]
	s_or_b64 s[90:91], vcc, s[90:91]
	v_add_u32_e32 v60, s39, v60
	s_andn2_b64 exec, exec, s[90:91]
	s_cbranch_execz .LBB17_2
.LBB17_7:                               ;   Parent Loop BB17_4 Depth=1
                                        ; =>  This Inner Loop Header: Depth=2
	global_load_dword v76, v[48:49], off
	v_ashrrev_i32_e32 v61, 31, v60
	v_lshl_add_u64 v[62:63], v[60:61], 2, v[50:51]
	v_mov_b32_e32 v61, 0
	s_and_saveexec_b64 s[92:93], s[46:47]
	s_cbranch_execz .LBB17_9
; %bb.8:                                ;   in Loop: Header=BB17_7 Depth=2
	v_lshl_add_u64 v[64:65], v[2:3], 2, v[62:63]
	global_load_dword v61, v[64:65], off
.LBB17_9:                               ;   in Loop: Header=BB17_7 Depth=2
	s_or_b64 exec, exec, s[92:93]
	global_load_dword v77, v[48:49], off offset:4
	v_mov_b32_e32 v78, 0
	v_mov_b32_e32 v79, 0
	s_and_saveexec_b64 s[92:93], s[48:49]
	s_cbranch_execz .LBB17_11
; %bb.10:                               ;   in Loop: Header=BB17_7 Depth=2
	v_lshl_add_u64 v[64:65], v[4:5], 2, v[62:63]
	global_load_dword v79, v[64:65], off
.LBB17_11:                              ;   in Loop: Header=BB17_7 Depth=2
	s_or_b64 exec, exec, s[92:93]
	global_load_dword v80, v[48:49], off offset:8
	s_and_saveexec_b64 s[92:93], s[50:51]
	s_cbranch_execz .LBB17_13
; %bb.12:                               ;   in Loop: Header=BB17_7 Depth=2
	v_lshl_add_u64 v[64:65], v[6:7], 2, v[62:63]
	global_load_dword v78, v[64:65], off
.LBB17_13:                              ;   in Loop: Header=BB17_7 Depth=2
	s_or_b64 exec, exec, s[92:93]
	global_load_dword v81, v[48:49], off offset:12
	v_mov_b32_e32 v82, 0
	v_mov_b32_e32 v83, 0
	s_and_saveexec_b64 s[92:93], s[52:53]
	s_cbranch_execz .LBB17_15
; %bb.14:                               ;   in Loop: Header=BB17_7 Depth=2
	v_lshl_add_u64 v[64:65], v[8:9], 2, v[62:63]
	global_load_dword v83, v[64:65], off
.LBB17_15:                              ;   in Loop: Header=BB17_7 Depth=2
	s_or_b64 exec, exec, s[92:93]
	global_load_dword v84, v[48:49], off offset:16
	s_and_saveexec_b64 s[92:93], s[54:55]
	s_cbranch_execz .LBB17_17
; %bb.16:                               ;   in Loop: Header=BB17_7 Depth=2
	v_lshl_add_u64 v[64:65], v[10:11], 2, v[62:63]
	global_load_dword v82, v[64:65], off
.LBB17_17:                              ;   in Loop: Header=BB17_7 Depth=2
	s_or_b64 exec, exec, s[92:93]
	global_load_dword v85, v[48:49], off offset:20
	v_mov_b32_e32 v86, 0
	v_mov_b32_e32 v87, 0
	s_and_saveexec_b64 s[92:93], s[56:57]
	s_cbranch_execz .LBB17_19
; %bb.18:                               ;   in Loop: Header=BB17_7 Depth=2
	v_lshl_add_u64 v[64:65], v[12:13], 2, v[62:63]
	global_load_dword v87, v[64:65], off
.LBB17_19:                              ;   in Loop: Header=BB17_7 Depth=2
	s_or_b64 exec, exec, s[92:93]
	global_load_dword v88, v[48:49], off offset:24
	s_and_saveexec_b64 s[92:93], s[6:7]
	s_cbranch_execz .LBB17_21
; %bb.20:                               ;   in Loop: Header=BB17_7 Depth=2
	v_lshl_add_u64 v[64:65], v[14:15], 2, v[62:63]
	global_load_dword v86, v[64:65], off
.LBB17_21:                              ;   in Loop: Header=BB17_7 Depth=2
	s_or_b64 exec, exec, s[92:93]
	global_load_dword v89, v[48:49], off offset:28
	v_mov_b32_e32 v90, 0
	v_mov_b32_e32 v91, 0
	s_and_saveexec_b64 s[92:93], s[8:9]
	s_cbranch_execz .LBB17_23
; %bb.22:                               ;   in Loop: Header=BB17_7 Depth=2
	v_lshl_add_u64 v[64:65], v[16:17], 2, v[62:63]
	global_load_dword v91, v[64:65], off
.LBB17_23:                              ;   in Loop: Header=BB17_7 Depth=2
	s_or_b64 exec, exec, s[92:93]
	global_load_dword v92, v[48:49], off offset:32
	s_and_saveexec_b64 s[92:93], s[10:11]
	s_cbranch_execz .LBB17_25
; %bb.24:                               ;   in Loop: Header=BB17_7 Depth=2
	v_lshl_add_u64 v[64:65], v[18:19], 2, v[62:63]
	global_load_dword v90, v[64:65], off
.LBB17_25:                              ;   in Loop: Header=BB17_7 Depth=2
	s_or_b64 exec, exec, s[92:93]
	global_load_dword v93, v[48:49], off offset:36
	v_mov_b32_e32 v94, 0
	v_mov_b32_e32 v95, 0
	s_and_saveexec_b64 s[92:93], s[58:59]
	s_cbranch_execz .LBB17_27
; %bb.26:                               ;   in Loop: Header=BB17_7 Depth=2
	v_lshl_add_u64 v[64:65], v[20:21], 2, v[62:63]
	global_load_dword v95, v[64:65], off
.LBB17_27:                              ;   in Loop: Header=BB17_7 Depth=2
	s_or_b64 exec, exec, s[92:93]
	global_load_dword v96, v[48:49], off offset:40
	s_and_saveexec_b64 s[92:93], s[60:61]
	s_cbranch_execz .LBB17_29
; %bb.28:                               ;   in Loop: Header=BB17_7 Depth=2
	v_lshl_add_u64 v[64:65], v[22:23], 2, v[62:63]
	global_load_dword v94, v[64:65], off
.LBB17_29:                              ;   in Loop: Header=BB17_7 Depth=2
	s_or_b64 exec, exec, s[92:93]
	global_load_dword v97, v[48:49], off offset:44
	v_mov_b32_e32 v98, 0
	v_mov_b32_e32 v99, 0
	s_and_saveexec_b64 s[92:93], s[62:63]
	s_cbranch_execz .LBB17_31
; %bb.30:                               ;   in Loop: Header=BB17_7 Depth=2
	v_lshl_add_u64 v[64:65], v[24:25], 2, v[62:63]
	global_load_dword v99, v[64:65], off
.LBB17_31:                              ;   in Loop: Header=BB17_7 Depth=2
	s_or_b64 exec, exec, s[92:93]
	global_load_dword v100, v[48:49], off offset:48
	s_and_saveexec_b64 s[92:93], s[64:65]
	s_cbranch_execz .LBB17_33
; %bb.32:                               ;   in Loop: Header=BB17_7 Depth=2
	v_lshl_add_u64 v[64:65], v[26:27], 2, v[62:63]
	global_load_dword v98, v[64:65], off
.LBB17_33:                              ;   in Loop: Header=BB17_7 Depth=2
	s_or_b64 exec, exec, s[92:93]
	global_load_dword v101, v[48:49], off offset:52
	v_mov_b32_e32 v102, 0
	v_mov_b32_e32 v103, 0
	s_and_saveexec_b64 s[92:93], s[66:67]
	s_cbranch_execz .LBB17_35
; %bb.34:                               ;   in Loop: Header=BB17_7 Depth=2
	v_lshl_add_u64 v[64:65], v[28:29], 2, v[62:63]
	global_load_dword v103, v[64:65], off
.LBB17_35:                              ;   in Loop: Header=BB17_7 Depth=2
	s_or_b64 exec, exec, s[92:93]
	global_load_dword v104, v[48:49], off offset:56
	s_and_saveexec_b64 s[92:93], s[68:69]
	s_cbranch_execz .LBB17_37
; %bb.36:                               ;   in Loop: Header=BB17_7 Depth=2
	v_lshl_add_u64 v[64:65], v[30:31], 2, v[62:63]
	global_load_dword v102, v[64:65], off
.LBB17_37:                              ;   in Loop: Header=BB17_7 Depth=2
	s_or_b64 exec, exec, s[92:93]
	global_load_dword v105, v[48:49], off offset:60
	v_mov_b32_e32 v106, 0
	v_mov_b32_e32 v107, 0
	s_and_saveexec_b64 s[92:93], s[70:71]
	s_cbranch_execz .LBB17_39
; %bb.38:                               ;   in Loop: Header=BB17_7 Depth=2
	v_lshl_add_u64 v[64:65], v[32:33], 2, v[62:63]
	global_load_dword v107, v[64:65], off
.LBB17_39:                              ;   in Loop: Header=BB17_7 Depth=2
	s_or_b64 exec, exec, s[92:93]
	global_load_dword v108, v[48:49], off offset:64
	s_and_saveexec_b64 s[92:93], s[72:73]
	s_cbranch_execz .LBB17_41
; %bb.40:                               ;   in Loop: Header=BB17_7 Depth=2
	v_lshl_add_u64 v[64:65], v[34:35], 2, v[62:63]
	global_load_dword v106, v[64:65], off
.LBB17_41:                              ;   in Loop: Header=BB17_7 Depth=2
	s_or_b64 exec, exec, s[92:93]
	global_load_dword v109, v[48:49], off offset:68
	v_mov_b32_e32 v110, 0
	v_mov_b32_e32 v111, 0
	s_and_saveexec_b64 s[92:93], s[74:75]
	s_cbranch_execz .LBB17_43
; %bb.42:                               ;   in Loop: Header=BB17_7 Depth=2
	v_lshl_add_u64 v[64:65], v[36:37], 2, v[62:63]
	global_load_dword v111, v[64:65], off
.LBB17_43:                              ;   in Loop: Header=BB17_7 Depth=2
	s_or_b64 exec, exec, s[92:93]
	global_load_dword v112, v[48:49], off offset:72
	s_and_saveexec_b64 s[92:93], s[76:77]
	s_cbranch_execz .LBB17_45
; %bb.44:                               ;   in Loop: Header=BB17_7 Depth=2
	v_lshl_add_u64 v[64:65], v[38:39], 2, v[62:63]
	global_load_dword v110, v[64:65], off
.LBB17_45:                              ;   in Loop: Header=BB17_7 Depth=2
	s_or_b64 exec, exec, s[92:93]
	global_load_dword v113, v[48:49], off offset:76
	v_mov_b32_e32 v114, 0
	v_mov_b32_e32 v115, 0
	s_and_saveexec_b64 s[92:93], s[78:79]
	s_cbranch_execz .LBB17_47
; %bb.46:                               ;   in Loop: Header=BB17_7 Depth=2
	v_lshl_add_u64 v[64:65], v[40:41], 2, v[62:63]
	global_load_dword v115, v[64:65], off
.LBB17_47:                              ;   in Loop: Header=BB17_7 Depth=2
	s_or_b64 exec, exec, s[92:93]
	global_load_dword v116, v[48:49], off offset:80
	s_and_saveexec_b64 s[92:93], s[80:81]
	s_cbranch_execz .LBB17_49
; %bb.48:                               ;   in Loop: Header=BB17_7 Depth=2
	v_lshl_add_u64 v[64:65], v[42:43], 2, v[62:63]
	global_load_dword v114, v[64:65], off
.LBB17_49:                              ;   in Loop: Header=BB17_7 Depth=2
	s_or_b64 exec, exec, s[92:93]
	global_load_dword v117, v[48:49], off offset:84
	v_mov_b32_e32 v118, 0
	v_mov_b32_e32 v119, 0
	s_and_saveexec_b64 s[92:93], s[82:83]
	s_cbranch_execz .LBB17_51
; %bb.50:                               ;   in Loop: Header=BB17_7 Depth=2
	v_lshl_add_u64 v[64:65], v[44:45], 2, v[62:63]
	global_load_dword v119, v[64:65], off
.LBB17_51:                              ;   in Loop: Header=BB17_7 Depth=2
	s_or_b64 exec, exec, s[92:93]
	global_load_dword v120, v[48:49], off offset:88
	s_and_saveexec_b64 s[92:93], s[84:85]
	s_cbranch_execz .LBB17_53
; %bb.52:                               ;   in Loop: Header=BB17_7 Depth=2
	v_lshl_add_u64 v[64:65], v[46:47], 2, v[62:63]
	global_load_dword v118, v[64:65], off
.LBB17_53:                              ;   in Loop: Header=BB17_7 Depth=2
	s_or_b64 exec, exec, s[92:93]
	global_load_dword v121, v[48:49], off offset:92
	v_mov_b32_e32 v122, 0
	v_mov_b32_e32 v123, 0
	s_and_saveexec_b64 s[92:93], s[86:87]
	s_cbranch_execz .LBB17_55
; %bb.54:                               ;   in Loop: Header=BB17_7 Depth=2
	v_lshl_add_u64 v[64:65], v[52:53], 2, v[62:63]
	global_load_dword v123, v[64:65], off
.LBB17_55:                              ;   in Loop: Header=BB17_7 Depth=2
	s_or_b64 exec, exec, s[92:93]
	global_load_dword v124, v[48:49], off offset:96
	s_and_saveexec_b64 s[92:93], s[88:89]
	s_cbranch_execz .LBB17_57
; %bb.56:                               ;   in Loop: Header=BB17_7 Depth=2
	v_lshl_add_u64 v[64:65], v[54:55], 2, v[62:63]
	global_load_dword v122, v[64:65], off
.LBB17_57:                              ;   in Loop: Header=BB17_7 Depth=2
	s_or_b64 exec, exec, s[92:93]
	global_load_dword v125, v[48:49], off offset:100
	v_mov_b32_e32 v126, 0
	v_mov_b32_e32 v64, 0
	s_and_saveexec_b64 s[92:93], s[2:3]
	s_cbranch_execz .LBB17_59
; %bb.58:                               ;   in Loop: Header=BB17_7 Depth=2
	v_lshl_add_u64 v[64:65], v[56:57], 2, v[62:63]
	global_load_dword v64, v[64:65], off
.LBB17_59:                              ;   in Loop: Header=BB17_7 Depth=2
	s_or_b64 exec, exec, s[92:93]
	global_load_dword v65, v[48:49], off offset:104
	s_and_saveexec_b64 s[92:93], s[4:5]
	s_cbranch_execz .LBB17_6
; %bb.60:                               ;   in Loop: Header=BB17_7 Depth=2
	v_lshl_add_u64 v[62:63], v[58:59], 2, v[62:63]
	global_load_dword v126, v[62:63], off
	s_branch .LBB17_6
.LBB17_61:                              ;   in Loop: Header=BB17_4 Depth=1
	v_mov_b32_e32 v74, 0
	s_branch .LBB17_3
.LBB17_62:
	s_endpgm
	.section	.rodata,"a",@progbits
	.p2align	6, 0x0
	.amdhsa_kernel _ZN2at6native12_GLOBAL__N_143conv_depthwise3d_cuda_backward_input_kernelIffLi3ELi3ELi3ELi1ELi1ELi1ELi1ELi1ELi1EEEvN5torch10headeronly6detail27GenericPackedTensorAccessorINS5_14TensorAccessorIN3c108ArrayRefIlEEKT_Lm4ENS4_16DefaultPtrTraitsEiEENS_6detail16IndexBoundsCheckILm5EiEESC_Lm5ESD_iEENS6_INS7_ISA_SB_Lm4ESD_iEESH_SB_Lm5ESD_iEESI_iiiiiiiii
		.amdhsa_group_segment_fixed_size 0
		.amdhsa_private_segment_fixed_size 12
		.amdhsa_kernarg_size 440
		.amdhsa_user_sgpr_count 2
		.amdhsa_user_sgpr_dispatch_ptr 0
		.amdhsa_user_sgpr_queue_ptr 0
		.amdhsa_user_sgpr_kernarg_segment_ptr 1
		.amdhsa_user_sgpr_dispatch_id 0
		.amdhsa_user_sgpr_kernarg_preload_length 0
		.amdhsa_user_sgpr_kernarg_preload_offset 0
		.amdhsa_user_sgpr_private_segment_size 0
		.amdhsa_uses_dynamic_stack 0
		.amdhsa_enable_private_segment 1
		.amdhsa_system_sgpr_workgroup_id_x 1
		.amdhsa_system_sgpr_workgroup_id_y 0
		.amdhsa_system_sgpr_workgroup_id_z 0
		.amdhsa_system_sgpr_workgroup_info 0
		.amdhsa_system_vgpr_workitem_id 0
		.amdhsa_next_free_vgpr 128
		.amdhsa_next_free_sgpr 100
		.amdhsa_accum_offset 128
		.amdhsa_reserve_vcc 1
		.amdhsa_float_round_mode_32 0
		.amdhsa_float_round_mode_16_64 0
		.amdhsa_float_denorm_mode_32 3
		.amdhsa_float_denorm_mode_16_64 3
		.amdhsa_dx10_clamp 1
		.amdhsa_ieee_mode 1
		.amdhsa_fp16_overflow 0
		.amdhsa_tg_split 0
		.amdhsa_exception_fp_ieee_invalid_op 0
		.amdhsa_exception_fp_denorm_src 0
		.amdhsa_exception_fp_ieee_div_zero 0
		.amdhsa_exception_fp_ieee_overflow 0
		.amdhsa_exception_fp_ieee_underflow 0
		.amdhsa_exception_fp_ieee_inexact 0
		.amdhsa_exception_int_div_zero 0
	.end_amdhsa_kernel
	.section	.text._ZN2at6native12_GLOBAL__N_143conv_depthwise3d_cuda_backward_input_kernelIffLi3ELi3ELi3ELi1ELi1ELi1ELi1ELi1ELi1EEEvN5torch10headeronly6detail27GenericPackedTensorAccessorINS5_14TensorAccessorIN3c108ArrayRefIlEEKT_Lm4ENS4_16DefaultPtrTraitsEiEENS_6detail16IndexBoundsCheckILm5EiEESC_Lm5ESD_iEENS6_INS7_ISA_SB_Lm4ESD_iEESH_SB_Lm5ESD_iEESI_iiiiiiiii,"axG",@progbits,_ZN2at6native12_GLOBAL__N_143conv_depthwise3d_cuda_backward_input_kernelIffLi3ELi3ELi3ELi1ELi1ELi1ELi1ELi1ELi1EEEvN5torch10headeronly6detail27GenericPackedTensorAccessorINS5_14TensorAccessorIN3c108ArrayRefIlEEKT_Lm4ENS4_16DefaultPtrTraitsEiEENS_6detail16IndexBoundsCheckILm5EiEESC_Lm5ESD_iEENS6_INS7_ISA_SB_Lm4ESD_iEESH_SB_Lm5ESD_iEESI_iiiiiiiii,comdat
.Lfunc_end17:
	.size	_ZN2at6native12_GLOBAL__N_143conv_depthwise3d_cuda_backward_input_kernelIffLi3ELi3ELi3ELi1ELi1ELi1ELi1ELi1ELi1EEEvN5torch10headeronly6detail27GenericPackedTensorAccessorINS5_14TensorAccessorIN3c108ArrayRefIlEEKT_Lm4ENS4_16DefaultPtrTraitsEiEENS_6detail16IndexBoundsCheckILm5EiEESC_Lm5ESD_iEENS6_INS7_ISA_SB_Lm4ESD_iEESH_SB_Lm5ESD_iEESI_iiiiiiiii, .Lfunc_end17-_ZN2at6native12_GLOBAL__N_143conv_depthwise3d_cuda_backward_input_kernelIffLi3ELi3ELi3ELi1ELi1ELi1ELi1ELi1ELi1EEEvN5torch10headeronly6detail27GenericPackedTensorAccessorINS5_14TensorAccessorIN3c108ArrayRefIlEEKT_Lm4ENS4_16DefaultPtrTraitsEiEENS_6detail16IndexBoundsCheckILm5EiEESC_Lm5ESD_iEENS6_INS7_ISA_SB_Lm4ESD_iEESH_SB_Lm5ESD_iEESI_iiiiiiiii
                                        ; -- End function
	.set _ZN2at6native12_GLOBAL__N_143conv_depthwise3d_cuda_backward_input_kernelIffLi3ELi3ELi3ELi1ELi1ELi1ELi1ELi1ELi1EEEvN5torch10headeronly6detail27GenericPackedTensorAccessorINS5_14TensorAccessorIN3c108ArrayRefIlEEKT_Lm4ENS4_16DefaultPtrTraitsEiEENS_6detail16IndexBoundsCheckILm5EiEESC_Lm5ESD_iEENS6_INS7_ISA_SB_Lm4ESD_iEESH_SB_Lm5ESD_iEESI_iiiiiiiii.num_vgpr, 128
	.set _ZN2at6native12_GLOBAL__N_143conv_depthwise3d_cuda_backward_input_kernelIffLi3ELi3ELi3ELi1ELi1ELi1ELi1ELi1ELi1EEEvN5torch10headeronly6detail27GenericPackedTensorAccessorINS5_14TensorAccessorIN3c108ArrayRefIlEEKT_Lm4ENS4_16DefaultPtrTraitsEiEENS_6detail16IndexBoundsCheckILm5EiEESC_Lm5ESD_iEENS6_INS7_ISA_SB_Lm4ESD_iEESH_SB_Lm5ESD_iEESI_iiiiiiiii.num_agpr, 0
	.set _ZN2at6native12_GLOBAL__N_143conv_depthwise3d_cuda_backward_input_kernelIffLi3ELi3ELi3ELi1ELi1ELi1ELi1ELi1ELi1EEEvN5torch10headeronly6detail27GenericPackedTensorAccessorINS5_14TensorAccessorIN3c108ArrayRefIlEEKT_Lm4ENS4_16DefaultPtrTraitsEiEENS_6detail16IndexBoundsCheckILm5EiEESC_Lm5ESD_iEENS6_INS7_ISA_SB_Lm4ESD_iEESH_SB_Lm5ESD_iEESI_iiiiiiiii.numbered_sgpr, 100
	.set _ZN2at6native12_GLOBAL__N_143conv_depthwise3d_cuda_backward_input_kernelIffLi3ELi3ELi3ELi1ELi1ELi1ELi1ELi1ELi1EEEvN5torch10headeronly6detail27GenericPackedTensorAccessorINS5_14TensorAccessorIN3c108ArrayRefIlEEKT_Lm4ENS4_16DefaultPtrTraitsEiEENS_6detail16IndexBoundsCheckILm5EiEESC_Lm5ESD_iEENS6_INS7_ISA_SB_Lm4ESD_iEESH_SB_Lm5ESD_iEESI_iiiiiiiii.num_named_barrier, 0
	.set _ZN2at6native12_GLOBAL__N_143conv_depthwise3d_cuda_backward_input_kernelIffLi3ELi3ELi3ELi1ELi1ELi1ELi1ELi1ELi1EEEvN5torch10headeronly6detail27GenericPackedTensorAccessorINS5_14TensorAccessorIN3c108ArrayRefIlEEKT_Lm4ENS4_16DefaultPtrTraitsEiEENS_6detail16IndexBoundsCheckILm5EiEESC_Lm5ESD_iEENS6_INS7_ISA_SB_Lm4ESD_iEESH_SB_Lm5ESD_iEESI_iiiiiiiii.private_seg_size, 12
	.set _ZN2at6native12_GLOBAL__N_143conv_depthwise3d_cuda_backward_input_kernelIffLi3ELi3ELi3ELi1ELi1ELi1ELi1ELi1ELi1EEEvN5torch10headeronly6detail27GenericPackedTensorAccessorINS5_14TensorAccessorIN3c108ArrayRefIlEEKT_Lm4ENS4_16DefaultPtrTraitsEiEENS_6detail16IndexBoundsCheckILm5EiEESC_Lm5ESD_iEENS6_INS7_ISA_SB_Lm4ESD_iEESH_SB_Lm5ESD_iEESI_iiiiiiiii.uses_vcc, 1
	.set _ZN2at6native12_GLOBAL__N_143conv_depthwise3d_cuda_backward_input_kernelIffLi3ELi3ELi3ELi1ELi1ELi1ELi1ELi1ELi1EEEvN5torch10headeronly6detail27GenericPackedTensorAccessorINS5_14TensorAccessorIN3c108ArrayRefIlEEKT_Lm4ENS4_16DefaultPtrTraitsEiEENS_6detail16IndexBoundsCheckILm5EiEESC_Lm5ESD_iEENS6_INS7_ISA_SB_Lm4ESD_iEESH_SB_Lm5ESD_iEESI_iiiiiiiii.uses_flat_scratch, 0
	.set _ZN2at6native12_GLOBAL__N_143conv_depthwise3d_cuda_backward_input_kernelIffLi3ELi3ELi3ELi1ELi1ELi1ELi1ELi1ELi1EEEvN5torch10headeronly6detail27GenericPackedTensorAccessorINS5_14TensorAccessorIN3c108ArrayRefIlEEKT_Lm4ENS4_16DefaultPtrTraitsEiEENS_6detail16IndexBoundsCheckILm5EiEESC_Lm5ESD_iEENS6_INS7_ISA_SB_Lm4ESD_iEESH_SB_Lm5ESD_iEESI_iiiiiiiii.has_dyn_sized_stack, 0
	.set _ZN2at6native12_GLOBAL__N_143conv_depthwise3d_cuda_backward_input_kernelIffLi3ELi3ELi3ELi1ELi1ELi1ELi1ELi1ELi1EEEvN5torch10headeronly6detail27GenericPackedTensorAccessorINS5_14TensorAccessorIN3c108ArrayRefIlEEKT_Lm4ENS4_16DefaultPtrTraitsEiEENS_6detail16IndexBoundsCheckILm5EiEESC_Lm5ESD_iEENS6_INS7_ISA_SB_Lm4ESD_iEESH_SB_Lm5ESD_iEESI_iiiiiiiii.has_recursion, 0
	.set _ZN2at6native12_GLOBAL__N_143conv_depthwise3d_cuda_backward_input_kernelIffLi3ELi3ELi3ELi1ELi1ELi1ELi1ELi1ELi1EEEvN5torch10headeronly6detail27GenericPackedTensorAccessorINS5_14TensorAccessorIN3c108ArrayRefIlEEKT_Lm4ENS4_16DefaultPtrTraitsEiEENS_6detail16IndexBoundsCheckILm5EiEESC_Lm5ESD_iEENS6_INS7_ISA_SB_Lm4ESD_iEESH_SB_Lm5ESD_iEESI_iiiiiiiii.has_indirect_call, 0
	.section	.AMDGPU.csdata,"",@progbits
; Kernel info:
; codeLenInByte = 3580
; TotalNumSgprs: 106
; NumVgprs: 128
; NumAgprs: 0
; TotalNumVgprs: 128
; ScratchSize: 12
; MemoryBound: 0
; FloatMode: 240
; IeeeMode: 1
; LDSByteSize: 0 bytes/workgroup (compile time only)
; SGPRBlocks: 13
; VGPRBlocks: 15
; NumSGPRsForWavesPerEU: 106
; NumVGPRsForWavesPerEU: 128
; AccumOffset: 128
; Occupancy: 4
; WaveLimiterHint : 0
; COMPUTE_PGM_RSRC2:SCRATCH_EN: 1
; COMPUTE_PGM_RSRC2:USER_SGPR: 2
; COMPUTE_PGM_RSRC2:TRAP_HANDLER: 0
; COMPUTE_PGM_RSRC2:TGID_X_EN: 1
; COMPUTE_PGM_RSRC2:TGID_Y_EN: 0
; COMPUTE_PGM_RSRC2:TGID_Z_EN: 0
; COMPUTE_PGM_RSRC2:TIDIG_COMP_CNT: 0
; COMPUTE_PGM_RSRC3_GFX90A:ACCUM_OFFSET: 31
; COMPUTE_PGM_RSRC3_GFX90A:TG_SPLIT: 0
	.section	.text._ZN2at6native12_GLOBAL__N_143conv_depthwise3d_cuda_backward_input_kernelIffLi3ELi3ELi3ELi1ELi1ELi1ELin1ELin1ELin1EEEvN5torch10headeronly6detail27GenericPackedTensorAccessorINS5_14TensorAccessorIN3c108ArrayRefIlEEKT_Lm4ENS4_16DefaultPtrTraitsEiEENS_6detail16IndexBoundsCheckILm5EiEESC_Lm5ESD_iEENS6_INS7_ISA_SB_Lm4ESD_iEESH_SB_Lm5ESD_iEESI_iiiiiiiii,"axG",@progbits,_ZN2at6native12_GLOBAL__N_143conv_depthwise3d_cuda_backward_input_kernelIffLi3ELi3ELi3ELi1ELi1ELi1ELin1ELin1ELin1EEEvN5torch10headeronly6detail27GenericPackedTensorAccessorINS5_14TensorAccessorIN3c108ArrayRefIlEEKT_Lm4ENS4_16DefaultPtrTraitsEiEENS_6detail16IndexBoundsCheckILm5EiEESC_Lm5ESD_iEENS6_INS7_ISA_SB_Lm4ESD_iEESH_SB_Lm5ESD_iEESI_iiiiiiiii,comdat
	.globl	_ZN2at6native12_GLOBAL__N_143conv_depthwise3d_cuda_backward_input_kernelIffLi3ELi3ELi3ELi1ELi1ELi1ELin1ELin1ELin1EEEvN5torch10headeronly6detail27GenericPackedTensorAccessorINS5_14TensorAccessorIN3c108ArrayRefIlEEKT_Lm4ENS4_16DefaultPtrTraitsEiEENS_6detail16IndexBoundsCheckILm5EiEESC_Lm5ESD_iEENS6_INS7_ISA_SB_Lm4ESD_iEESH_SB_Lm5ESD_iEESI_iiiiiiiii ; -- Begin function _ZN2at6native12_GLOBAL__N_143conv_depthwise3d_cuda_backward_input_kernelIffLi3ELi3ELi3ELi1ELi1ELi1ELin1ELin1ELin1EEEvN5torch10headeronly6detail27GenericPackedTensorAccessorINS5_14TensorAccessorIN3c108ArrayRefIlEEKT_Lm4ENS4_16DefaultPtrTraitsEiEENS_6detail16IndexBoundsCheckILm5EiEESC_Lm5ESD_iEENS6_INS7_ISA_SB_Lm4ESD_iEESH_SB_Lm5ESD_iEESI_iiiiiiiii
	.p2align	8
	.type	_ZN2at6native12_GLOBAL__N_143conv_depthwise3d_cuda_backward_input_kernelIffLi3ELi3ELi3ELi1ELi1ELi1ELin1ELin1ELin1EEEvN5torch10headeronly6detail27GenericPackedTensorAccessorINS5_14TensorAccessorIN3c108ArrayRefIlEEKT_Lm4ENS4_16DefaultPtrTraitsEiEENS_6detail16IndexBoundsCheckILm5EiEESC_Lm5ESD_iEENS6_INS7_ISA_SB_Lm4ESD_iEESH_SB_Lm5ESD_iEESI_iiiiiiiii,@function
_ZN2at6native12_GLOBAL__N_143conv_depthwise3d_cuda_backward_input_kernelIffLi3ELi3ELi3ELi1ELi1ELi1ELin1ELin1ELin1EEEvN5torch10headeronly6detail27GenericPackedTensorAccessorINS5_14TensorAccessorIN3c108ArrayRefIlEEKT_Lm4ENS4_16DefaultPtrTraitsEiEENS_6detail16IndexBoundsCheckILm5EiEESC_Lm5ESD_iEENS6_INS7_ISA_SB_Lm4ESD_iEESH_SB_Lm5ESD_iEESI_iiiiiiiii: ; @_ZN2at6native12_GLOBAL__N_143conv_depthwise3d_cuda_backward_input_kernelIffLi3ELi3ELi3ELi1ELi1ELi1ELin1ELin1ELin1EEEvN5torch10headeronly6detail27GenericPackedTensorAccessorINS5_14TensorAccessorIN3c108ArrayRefIlEEKT_Lm4ENS4_16DefaultPtrTraitsEiEENS_6detail16IndexBoundsCheckILm5EiEESC_Lm5ESD_iEENS6_INS7_ISA_SB_Lm4ESD_iEESH_SB_Lm5ESD_iEESI_iiiiiiiii
; %bb.0:
	s_load_dwordx4 s[8:11], s[0:1], 0x38
	s_load_dwordx2 s[16:17], s[0:1], 0x48
	s_load_dword s4, s[0:1], 0xc4
                                        ; implicit-def: $vgpr126 : SGPR spill to VGPR lane
	v_mov_b32_e32 v3, s2
	v_mov_b32_e32 v1, 0
	s_waitcnt lgkmcnt(0)
	s_abs_i32 s3, s9
	v_cvt_f32_u32_e32 v2, s3
	v_writelane_b32 v126, s3, 0
	s_mov_b64 s[6:7], s[10:11]
	s_mov_b32 s5, s9
	v_rcp_iflag_f32_e32 v2, v2
	v_writelane_b32 v126, s4, 1
	s_mul_i32 s8, s17, s8
	s_add_u32 s2, s0, 0xb8
	v_mul_f32_e32 v2, 0x4f7ffffe, v2
	v_writelane_b32 v126, s5, 2
	v_cvt_u32_f32_e32 v2, v2
	v_writelane_b32 v126, s6, 3
	v_writelane_b32 v126, s7, 4
	s_addc_u32 s3, s1, 0
	s_and_b32 s4, s4, 0xffff
	s_ashr_i32 s9, s8, 31
	v_mad_u64_u32 v[0:1], s[6:7], s4, v3, v[0:1]
	v_writelane_b32 v126, s8, 5
	v_readfirstlane_b32 s5, v2
	s_nop 0
	v_writelane_b32 v126, s9, 6
	v_cmp_gt_i64_e32 vcc, s[8:9], v[0:1]
	s_and_saveexec_b64 s[6:7], vcc
	s_cbranch_execz .LBB18_63
; %bb.1:
	s_load_dwordx2 s[6:7], s[0:1], 0x0
	s_load_dwordx4 s[24:27], s[0:1], 0x50
	s_load_dwordx4 s[8:11], s[0:1], 0xc
	;; [unrolled: 1-line block ×3, first 2 shown]
	s_load_dwordx2 s[18:19], s[0:1], 0xa0
                                        ; kill: killed $sgpr0 killed $sgpr1
	s_waitcnt lgkmcnt(0)
	v_writelane_b32 v126, s6, 7
	s_ashr_i32 s12, s13, 31
	s_nop 0
	v_writelane_b32 v126, s7, 8
	s_ashr_i32 s6, s8, 31
	v_writelane_b32 v126, s8, 9
	s_abs_i32 s7, s8
	s_xor_b32 s6, s6, s12
	v_writelane_b32 v126, s9, 10
	v_writelane_b32 v126, s10, 11
	;; [unrolled: 1-line block ×3, first 2 shown]
	s_mov_b32 s13, 0
	v_readlane_b32 s11, v126, 0
	s_sub_i32 s8, 0, s11
	s_mul_i32 s9, s8, s5
	s_mul_hi_u32 s9, s5, s9
	s_add_i32 s5, s5, s9
	s_mul_hi_u32 s5, s7, s5
	s_mul_i32 s9, s5, s11
	s_sub_i32 s7, s7, s9
	s_add_i32 s9, s5, 1
	s_sub_i32 s10, s7, s11
	s_cmp_ge_u32 s7, s11
	s_cselect_b32 s5, s9, s5
	s_cselect_b32 s7, s10, s7
	s_add_i32 s9, s5, 1
	s_cmp_ge_u32 s7, s11
	s_cselect_b32 s5, s9, s5
	s_xor_b32 s5, s5, s6
	s_sub_i32 s6, s5, s6
	s_load_dword s5, s[2:3], 0x0
	s_load_dwordx4 s[20:23], s[0:1], 0x90
	s_load_dword s7, s[0:1], 0x7c
	s_load_dwordx2 s[10:11], s[0:1], 0x1c
	v_writelane_b32 v126, s18, 13
	s_cmp_gt_i32 s6, 0
	s_cselect_b64 s[2:3], -1, 0
	v_writelane_b32 v126, s19, 14
	v_writelane_b32 v126, s12, 15
	;; [unrolled: 1-line block ×3, first 2 shown]
	s_waitcnt lgkmcnt(0)
	v_writelane_b32 v126, s7, 17
	v_writelane_b32 v126, s10, 18
	s_abs_i32 s6, s16
	v_cvt_f32_u32_e32 v3, s6
	v_writelane_b32 v126, s11, 19
	s_load_dwordx2 s[10:11], s[0:1], 0x30
	s_mul_i32 s12, s5, s4
	v_rcp_iflag_f32_e32 v3, v3
	s_abs_i32 s4, s14
	s_abs_i32 s33, s22
	s_waitcnt lgkmcnt(0)
	v_writelane_b32 v126, s10, 20
	v_mul_f32_e32 v3, 0x4f7ffffe, v3
	v_cvt_u32_f32_e32 v3, v3
	v_writelane_b32 v126, s11, 21
	s_load_dwordx2 s[10:11], s[0:1], 0x60
	s_ashr_i32 s0, s16, 31
	s_abs_i32 s1, s15
	v_cvt_f32_u32_e32 v4, s1
	s_waitcnt lgkmcnt(0)
	v_writelane_b32 v126, s10, 22
	v_rcp_iflag_f32_e32 v4, v4
	s_nop 0
	v_writelane_b32 v126, s11, 23
	v_writelane_b32 v126, s24, 24
	v_mul_f32_e32 v4, 0x4f7ffffe, v4
	s_nop 0
	v_writelane_b32 v126, s25, 25
	v_writelane_b32 v126, s26, 26
	;; [unrolled: 1-line block ×4, first 2 shown]
	v_cvt_u32_f32_e32 v4, v4
	s_nop 0
	v_writelane_b32 v126, s13, 29
	v_writelane_b32 v126, s0, 30
	s_sub_i32 s0, 0, s6
	v_mul_lo_u32 v5, s0, v3
	v_mul_hi_u32 v5, v3, v5
	v_add_u32_e32 v3, v3, v5
	scratch_store_dword off, v3, off        ; 4-byte Folded Spill
	v_cvt_f32_u32_e32 v3, s4
	v_writelane_b32 v126, s6, 31
	s_ashr_i32 s0, s15, 31
	v_writelane_b32 v126, s0, 32
	v_rcp_iflag_f32_e32 v3, v3
	s_sub_i32 s0, 0, s1
	v_mul_lo_u32 v5, s0, v4
	v_writelane_b32 v126, s1, 33
	v_mul_f32_e32 v3, 0x4f7ffffe, v3
	v_cvt_u32_f32_e32 v3, v3
	v_mul_hi_u32 v5, v4, v5
	s_ashr_i32 s0, s14, 31
	v_add_u32_e32 v4, v4, v5
	v_writelane_b32 v126, s0, 34
	s_sub_i32 s0, 0, s4
	scratch_store_dword off, v4, off offset:4 ; 4-byte Folded Spill
	v_mul_lo_u32 v4, s0, v3
	s_abs_i32 s0, s20
	v_cvt_f32_u32_e32 v5, s0
	v_mul_hi_u32 v4, v3, v4
	v_add_u32_e32 v3, v3, v4
	scratch_store_dword off, v3, off offset:8 ; 4-byte Folded Spill
	v_rcp_iflag_f32_e32 v4, v5
	v_mul_lo_u32 v3, s8, v2
	v_mul_hi_u32 v3, v2, v3
	v_add_u32_e32 v2, v2, v3
	scratch_store_dword off, v2, off offset:12 ; 4-byte Folded Spill
	v_mul_f32_e32 v2, 0x4f7ffffe, v4
	v_cvt_u32_f32_e32 v2, v2
	v_writelane_b32 v126, s4, 35
	s_ashr_i32 s1, s20, 31
	v_writelane_b32 v126, s1, 36
	s_abs_i32 s1, s21
	v_writelane_b32 v126, s0, 37
	s_sub_i32 s0, 0, s0
	v_cvt_f32_u32_e32 v3, s1
	v_mul_lo_u32 v4, s0, v2
	v_mul_hi_u32 v4, v2, v4
	v_add_u32_e32 v2, v2, v4
	scratch_store_dword off, v2, off offset:16 ; 4-byte Folded Spill
	v_cvt_f32_u32_e32 v2, s33
	v_rcp_iflag_f32_e32 v3, v3
	s_ashr_i32 s0, s21, 31
	v_writelane_b32 v126, s0, 38
	v_rcp_iflag_f32_e32 v2, v2
	v_mul_f32_e32 v3, 0x4f7ffffe, v3
	v_cvt_u32_f32_e32 v3, v3
	v_writelane_b32 v126, s1, 39
	v_mul_f32_e32 v2, 0x4f7ffffe, v2
	v_writelane_b32 v126, s20, 40
	s_sub_i32 s0, 0, s1
	v_cvt_u32_f32_e32 v2, v2
	v_writelane_b32 v126, s21, 41
	v_mul_lo_u32 v4, s0, v3
	v_writelane_b32 v126, s22, 42
	v_mul_hi_u32 v4, v3, v4
	v_writelane_b32 v126, s23, 43
	s_ashr_i32 s0, s22, 31
	v_add_u32_e32 v3, v3, v4
	v_writelane_b32 v126, s0, 44
	s_sub_i32 s0, 0, s33
	scratch_store_dword off, v3, off offset:20 ; 4-byte Folded Spill
	v_mul_lo_u32 v3, s0, v2
	v_mul_hi_u32 v3, v2, v3
	v_add_u32_e32 v70, v2, v3
	v_cndmask_b32_e64 v2, 0, 1, s[2:3]
	v_cmp_ne_u32_e64 s[0:1], 1, v2
	s_mov_b64 s[4:5], 0
	s_nop 0
	v_writelane_b32 v126, s0, 45
	s_nop 1
	v_writelane_b32 v126, s1, 46
	v_writelane_b32 v126, s16, 47
	s_nop 1
	v_writelane_b32 v126, s17, 48
.LBB18_2:                               ; =>This Loop Header: Depth=1
                                        ;     Child Loop BB18_5 Depth 2
	scratch_load_dword v4, off, off         ; 4-byte Folded Reload
	v_writelane_b32 v126, s4, 49
	v_sub_u32_e32 v3, 0, v0
	v_ashrrev_i32_e32 v2, 31, v0
	v_writelane_b32 v126, s5, 50
	v_max_i32_e32 v3, v0, v3
	v_readlane_b32 s0, v126, 30
	s_waitcnt vmcnt(0)
	v_mul_hi_u32 v4, v3, v4
	v_xor_b32_e32 v2, s0, v2
	v_readlane_b32 s0, v126, 31
	s_nop 1
	v_mul_lo_u32 v5, v4, s0
	v_sub_u32_e32 v3, v3, v5
	v_add_u32_e32 v5, 1, v4
	v_cmp_le_u32_e32 vcc, s0, v3
	s_nop 1
	v_cndmask_b32_e32 v4, v4, v5, vcc
	v_subrev_u32_e32 v5, s0, v3
	v_cndmask_b32_e32 v3, v3, v5, vcc
	v_add_u32_e32 v5, 1, v4
	v_cmp_le_u32_e32 vcc, s0, v3
	v_readlane_b32 s0, v126, 32
	s_nop 0
	v_cndmask_b32_e32 v3, v4, v5, vcc
	scratch_load_dword v5, off, off offset:4 ; 4-byte Folded Reload
	v_xor_b32_e32 v3, v3, v2
	v_sub_u32_e32 v2, v3, v2
	v_mul_lo_u32 v3, v2, s16
	v_sub_u32_e32 v4, 0, v2
	v_sub_u32_e32 v71, v0, v3
	v_ashrrev_i32_e32 v3, 31, v2
	v_max_i32_e32 v4, v2, v4
	v_xor_b32_e32 v3, s0, v3
	v_readlane_b32 s0, v126, 33
	s_waitcnt vmcnt(0)
	v_mul_hi_u32 v5, v4, v5
	v_mul_lo_u32 v6, v5, s0
	v_sub_u32_e32 v4, v4, v6
	v_add_u32_e32 v6, 1, v5
	v_cmp_le_u32_e32 vcc, s0, v4
	s_nop 1
	v_cndmask_b32_e32 v5, v5, v6, vcc
	v_subrev_u32_e32 v6, s0, v4
	v_cndmask_b32_e32 v4, v4, v6, vcc
	v_add_u32_e32 v6, 1, v5
	v_cmp_le_u32_e32 vcc, s0, v4
	v_readlane_b32 s0, v126, 1
	v_readlane_b32 s3, v126, 4
	v_cndmask_b32_e32 v4, v5, v6, vcc
	scratch_load_dword v5, off, off offset:8 ; 4-byte Folded Reload
	v_xor_b32_e32 v4, v4, v3
	v_sub_u32_e32 v3, v4, v3
	v_mul_lo_u32 v4, v3, s3
	v_sub_u32_e32 v72, v2, v4
	v_sub_u32_e32 v4, 0, v3
	v_ashrrev_i32_e32 v2, 31, v3
	v_readlane_b32 s0, v126, 34
	v_max_i32_e32 v4, v3, v4
	v_readlane_b32 s2, v126, 3
	v_xor_b32_e32 v2, s0, v2
	v_readlane_b32 s0, v126, 35
	v_readlane_b32 s1, v126, 2
	s_waitcnt vmcnt(0)
	v_mul_hi_u32 v5, v4, v5
	v_mul_lo_u32 v6, v5, s0
	v_sub_u32_e32 v4, v4, v6
	v_add_u32_e32 v6, 1, v5
	v_cmp_le_u32_e32 vcc, s0, v4
	s_nop 1
	v_cndmask_b32_e32 v5, v5, v6, vcc
	v_subrev_u32_e32 v6, s0, v4
	v_cndmask_b32_e32 v4, v4, v6, vcc
	v_add_u32_e32 v6, 1, v5
	v_cmp_le_u32_e32 vcc, s0, v4
	v_readlane_b32 s0, v126, 15
	s_nop 0
	v_cndmask_b32_e32 v4, v5, v6, vcc
	scratch_load_dword v5, off, off offset:12 ; 4-byte Folded Reload
	v_xor_b32_e32 v4, v4, v2
	v_sub_u32_e32 v2, v4, v2
	v_mul_lo_u32 v4, v2, s2
	v_sub_u32_e32 v73, v3, v4
	v_sub_u32_e32 v4, 0, v2
	v_ashrrev_i32_e32 v3, 31, v2
	v_max_i32_e32 v4, v2, v4
	v_xor_b32_e32 v3, s0, v3
	v_readlane_b32 s0, v126, 0
	s_waitcnt vmcnt(0)
	v_mul_hi_u32 v5, v4, v5
	v_mul_lo_u32 v6, v5, s0
	v_sub_u32_e32 v4, v4, v6
	v_add_u32_e32 v6, 1, v5
	v_cmp_le_u32_e32 vcc, s0, v4
	s_nop 1
	v_cndmask_b32_e32 v5, v5, v6, vcc
	v_subrev_u32_e32 v6, s0, v4
	v_cndmask_b32_e32 v4, v4, v6, vcc
	v_add_u32_e32 v6, 1, v5
	v_cmp_le_u32_e32 vcc, s0, v4
	s_nop 1
	v_cndmask_b32_e32 v4, v5, v6, vcc
	v_xor_b32_e32 v4, v4, v3
	v_sub_u32_e32 v75, v4, v3
	v_mul_lo_u32 v3, v75, s1
	v_readlane_b32 s0, v126, 45
	v_readlane_b32 s1, v126, 46
	s_and_b64 vcc, exec, s[0:1]
	v_sub_u32_e32 v74, v2, v3
	s_cbranch_vccnz .LBB18_60
; %bb.3:                                ;   in Loop: Header=BB18_2 Depth=1
	scratch_load_dword v14, off, off offset:16 ; 4-byte Folded Reload
	scratch_load_dword v11, off, off offset:20 ; 4-byte Folded Reload
	v_readlane_b32 s44, v126, 40
	v_readlane_b32 s47, v126, 43
	;; [unrolled: 1-line block ×4, first 2 shown]
	v_add_u32_e32 v3, s47, v73
	v_sub_u32_e32 v6, 0, v3
	v_max_i32_e32 v6, v3, v6
	v_add_u32_e32 v4, s0, v72
	v_readlane_b32 s0, v126, 37
	v_add_u32_e32 v2, s1, v71
	v_readlane_b32 s1, v126, 39
	v_ashrrev_i32_e32 v5, 31, v3
	v_readlane_b32 s26, v126, 36
	v_readlane_b32 s6, v126, 38
	;; [unrolled: 1-line block ×3, first 2 shown]
	v_xor_b32_e32 v5, s26, v5
	v_readlane_b32 s84, v126, 9
	v_readlane_b32 s86, v126, 11
	;; [unrolled: 1-line block ×3, first 2 shown]
	v_sub_u32_e32 v22, 2, v2
	v_readlane_b32 s85, v126, 10
	v_readlane_b32 s45, v126, 41
	;; [unrolled: 1-line block ×3, first 2 shown]
                                        ; implicit-def: $vgpr127 : SGPR spill to VGPR lane
	v_mov_b32_e32 v78, 0
	s_waitcnt vmcnt(1)
	v_mul_hi_u32 v7, v6, v14
	v_mul_lo_u32 v8, v7, s0
	v_sub_u32_e32 v6, v6, v8
	v_add_u32_e32 v8, 1, v7
	v_cmp_le_u32_e32 vcc, s0, v6
	s_nop 1
	v_cndmask_b32_e32 v7, v7, v8, vcc
	v_subrev_u32_e32 v8, s0, v6
	v_cndmask_b32_e32 v6, v6, v8, vcc
	v_add_u32_e32 v8, 1, v7
	v_cmp_le_u32_e32 vcc, s0, v6
	s_nop 1
	v_cndmask_b32_e32 v6, v7, v8, vcc
	v_sub_u32_e32 v7, 0, v4
	v_max_i32_e32 v7, v4, v7
	s_waitcnt vmcnt(0)
	v_mul_hi_u32 v8, v7, v11
	v_mul_lo_u32 v9, v8, s1
	v_sub_u32_e32 v7, v7, v9
	v_add_u32_e32 v9, 1, v8
	v_cmp_le_u32_e64 s[2:3], s1, v7
	v_xor_b32_e32 v6, v6, v5
	v_sub_u32_e32 v6, v6, v5
	v_cndmask_b32_e64 v8, v8, v9, s[2:3]
	v_subrev_u32_e32 v9, s1, v7
	v_cndmask_b32_e64 v7, v7, v9, s[2:3]
	v_ashrrev_i32_e32 v5, 31, v4
	v_add_u32_e32 v9, 1, v8
	v_cmp_le_u32_e64 s[2:3], s1, v7
	v_xor_b32_e32 v5, s6, v5
	v_cmp_gt_i32_e32 vcc, s85, v6
	v_cndmask_b32_e64 v7, v8, v9, s[2:3]
	v_xor_b32_e32 v7, v7, v5
	v_sub_u32_e32 v42, v7, v5
	v_sub_u32_e32 v7, 0, v2
	v_max_i32_e32 v7, v2, v7
	v_mul_hi_u32 v8, v7, v70
	v_mul_lo_u32 v9, v8, s33
	v_sub_u32_e32 v7, v7, v9
	v_add_u32_e32 v9, 1, v8
	v_cmp_le_u32_e64 s[4:5], s33, v7
	v_ashrrev_i32_e32 v5, 31, v2
	v_xor_b32_e32 v5, s10, v5
	v_cndmask_b32_e64 v8, v8, v9, s[4:5]
	v_subrev_u32_e32 v9, s33, v7
	v_cndmask_b32_e64 v7, v7, v9, s[4:5]
	v_add_u32_e32 v9, 1, v8
	v_cmp_le_u32_e64 s[4:5], s33, v7
	v_cmp_gt_i32_e64 s[2:3], s86, v42
	s_nop 0
	v_cndmask_b32_e64 v7, v8, v9, s[4:5]
	v_xor_b32_e32 v7, v7, v5
	v_sub_u32_e32 v54, v7, v5
	v_add_u32_e32 v5, -2, v4
	v_sub_u32_e32 v8, 2, v4
	v_max_i32_e32 v8, v5, v8
	v_mul_hi_u32 v9, v8, v11
	v_mul_lo_u32 v10, v9, s1
	v_sub_u32_e32 v8, v8, v10
	v_add_u32_e32 v10, 1, v9
	v_cmp_le_u32_e64 s[4:5], s1, v8
	v_ashrrev_i32_e32 v7, 31, v5
	v_xor_b32_e32 v7, s6, v7
	v_cndmask_b32_e64 v9, v9, v10, s[4:5]
	v_subrev_u32_e32 v10, s1, v8
	v_cndmask_b32_e64 v8, v8, v10, s[4:5]
	v_add_u32_e32 v10, 1, v9
	v_cmp_le_u32_e64 s[4:5], s1, v8
	v_or_b32_e32 v15, v54, v42
	s_nop 0
	v_cndmask_b32_e64 v8, v9, v10, s[4:5]
	v_xor_b32_e32 v8, v8, v7
	v_sub_u32_e32 v55, v8, v7
	v_add_u32_e32 v8, -1, v4
	v_sub_u32_e32 v10, 1, v4
	v_max_i32_e32 v10, v8, v10
	v_mul_hi_u32 v11, v10, v11
	v_mul_lo_u32 v12, v11, s1
	v_sub_u32_e32 v10, v10, v12
	v_add_u32_e32 v12, 1, v11
	v_cmp_le_u32_e64 s[4:5], s1, v10
	v_ashrrev_i32_e32 v9, 31, v8
	v_xor_b32_e32 v9, s6, v9
	v_cndmask_b32_e64 v11, v11, v12, s[4:5]
	v_subrev_u32_e32 v12, s1, v10
	v_cndmask_b32_e64 v10, v10, v12, s[4:5]
	v_add_u32_e32 v12, 1, v11
	v_cmp_le_u32_e64 s[4:5], s1, v10
	v_or_b32_e32 v7, v54, v55
	v_or_b32_e32 v30, v7, v6
	v_cndmask_b32_e64 v10, v11, v12, s[4:5]
	v_xor_b32_e32 v10, v10, v9
	v_sub_u32_e32 v48, v10, v9
	v_add_u32_e32 v9, -2, v3
	v_sub_u32_e32 v10, 2, v3
	v_max_i32_e32 v10, v9, v10
	v_mul_hi_u32 v11, v10, v14
	v_mul_lo_u32 v13, v11, s0
	v_sub_u32_e32 v10, v10, v13
	v_add_u32_e32 v13, 1, v11
	v_cmp_le_u32_e64 s[4:5], s0, v10
	v_or_b32_e32 v12, v54, v48
	v_or_b32_e32 v27, v12, v6
	v_cndmask_b32_e64 v11, v11, v13, s[4:5]
	v_subrev_u32_e32 v13, s0, v10
	v_cndmask_b32_e64 v10, v10, v13, s[4:5]
	v_add_u32_e32 v13, 1, v11
	v_cmp_le_u32_e64 s[4:5], s0, v10
	s_nop 1
	v_cndmask_b32_e64 v17, v11, v13, s[4:5]
	v_add_u32_e32 v11, -1, v3
	v_sub_u32_e32 v13, 1, v3
	v_max_i32_e32 v13, v11, v13
	v_mul_hi_u32 v14, v13, v14
	v_mul_lo_u32 v16, v14, s0
	v_sub_u32_e32 v13, v13, v16
	v_add_u32_e32 v16, 1, v14
	v_cmp_le_u32_e64 s[4:5], s0, v13
	v_ashrrev_i32_e32 v10, 31, v11
	v_xor_b32_e32 v10, s26, v10
	v_cndmask_b32_e64 v14, v14, v16, s[4:5]
	v_subrev_u32_e32 v16, s0, v13
	v_cndmask_b32_e64 v13, v13, v16, s[4:5]
	v_add_u32_e32 v16, 1, v14
	v_cmp_le_u32_e64 s[4:5], s0, v13
	s_nop 1
	v_cndmask_b32_e64 v13, v14, v16, s[4:5]
	v_xor_b32_e32 v13, v13, v10
	v_sub_u32_e32 v24, v13, v10
	v_or_b32_e32 v10, v15, v6
	v_cmp_lt_i32_e64 s[6:7], -1, v10
	v_add_u32_e32 v10, -1, v2
	v_sub_u32_e32 v14, 1, v2
	v_max_i32_e32 v14, v10, v14
	v_mul_hi_u32 v16, v14, v70
	v_cmp_gt_i32_e64 s[4:5], s87, v54
	v_mul_lo_u32 v18, v16, s33
	s_and_b64 s[12:13], s[4:5], s[2:3]
	v_sub_u32_e32 v14, v14, v18
	s_and_b64 s[0:1], s[12:13], s[6:7]
	v_add_u32_e32 v18, 1, v16
	v_cmp_le_u32_e64 s[6:7], s33, v14
	v_ashrrev_i32_e32 v13, 31, v10
	v_xor_b32_e32 v13, s10, v13
	v_cndmask_b32_e64 v16, v16, v18, s[6:7]
	v_subrev_u32_e32 v18, s33, v14
	v_cndmask_b32_e64 v14, v14, v18, s[6:7]
	v_add_u32_e32 v18, 1, v16
	v_cmp_le_u32_e64 s[6:7], s33, v14
	s_and_b64 s[0:1], s[0:1], vcc
	v_writelane_b32 v126, s0, 51
	v_cndmask_b32_e64 v14, v16, v18, s[6:7]
	v_xor_b32_e32 v14, v14, v13
	v_sub_u32_e32 v56, v14, v13
	v_or_b32_e32 v20, v56, v42
	v_or_b32_e32 v13, v20, v6
	v_cmp_lt_i32_e64 s[8:9], -1, v13
	v_add_u32_e32 v13, -2, v2
	v_max_i32_e32 v22, v13, v22
	v_mul_hi_u32 v23, v22, v70
	v_cmp_gt_i32_e64 s[6:7], s87, v56
	v_mul_lo_u32 v25, v23, s33
	s_and_b64 s[14:15], s[6:7], s[2:3]
	v_sub_u32_e32 v22, v22, v25
	v_writelane_b32 v126, s1, 52
	s_and_b64 s[0:1], s[14:15], s[8:9]
	v_add_u32_e32 v25, 1, v23
	v_cmp_le_u32_e64 s[8:9], s33, v22
	v_ashrrev_i32_e32 v16, 31, v13
	v_xor_b32_e32 v16, s10, v16
	v_cndmask_b32_e64 v23, v23, v25, s[8:9]
	v_subrev_u32_e32 v25, s33, v22
	v_cndmask_b32_e64 v22, v22, v25, s[8:9]
	v_add_u32_e32 v25, 1, v23
	v_cmp_le_u32_e64 s[8:9], s33, v22
	s_and_b64 s[0:1], s[0:1], vcc
	v_writelane_b32 v126, s0, 53
	v_cndmask_b32_e64 v22, v23, v25, s[8:9]
	v_xor_b32_e32 v22, v22, v16
	v_sub_u32_e32 v58, v22, v16
	v_or_b32_e32 v23, v58, v42
	v_or_b32_e32 v26, v23, v6
	v_cmp_gt_i32_e64 s[10:11], s87, v58
	v_cmp_lt_i32_e64 s[8:9], -1, v26
	s_and_b64 s[16:17], s[10:11], s[2:3]
	v_writelane_b32 v126, s1, 54
	s_and_b64 s[0:1], s[16:17], s[8:9]
	s_and_b64 s[0:1], s[0:1], vcc
	v_cmp_gt_i32_e64 s[2:3], s86, v48
	v_writelane_b32 v126, s0, 55
	v_cmp_lt_i32_e64 s[8:9], -1, v27
	s_and_b64 s[20:21], s[4:5], s[2:3]
	v_or_b32_e32 v18, v56, v48
	v_writelane_b32 v126, s1, 56
	s_and_b64 s[0:1], s[20:21], s[8:9]
	s_and_b64 s[0:1], s[0:1], vcc
	v_or_b32_e32 v28, v18, v6
	v_writelane_b32 v126, s0, 57
	v_cmp_lt_i32_e64 s[8:9], -1, v28
	s_and_b64 s[22:23], s[6:7], s[2:3]
	v_or_b32_e32 v22, v58, v48
	v_writelane_b32 v126, s1, 58
	s_and_b64 s[0:1], s[22:23], s[8:9]
	s_and_b64 s[0:1], s[0:1], vcc
	v_or_b32_e32 v29, v22, v6
	v_writelane_b32 v126, s0, 59
	v_cmp_lt_i32_e64 s[8:9], -1, v29
	s_and_b64 s[24:25], s[10:11], s[2:3]
	v_writelane_b32 v126, s1, 60
	s_and_b64 s[0:1], s[24:25], s[8:9]
	s_and_b64 s[0:1], s[0:1], vcc
	v_cmp_gt_i32_e64 s[2:3], s86, v55
	v_writelane_b32 v126, s0, 61
	v_cmp_lt_i32_e64 s[8:9], -1, v30
	s_and_b64 s[18:19], s[4:5], s[2:3]
	v_or_b32_e32 v14, v56, v55
	v_writelane_b32 v126, s1, 62
	s_and_b64 s[0:1], s[18:19], s[8:9]
	v_or_b32_e32 v16, v58, v55
	s_and_b64 s[0:1], s[0:1], vcc
	v_or_b32_e32 v31, v14, v6
	v_writelane_b32 v126, s0, 63
	v_cmp_lt_i32_e64 s[4:5], -1, v31
	s_and_b64 s[8:9], s[6:7], s[2:3]
	v_or_b32_e32 v32, v16, v6
	v_or_b32_e32 v19, v15, v24
	v_writelane_b32 v127, s1, 0
	s_and_b64 s[0:1], s[8:9], s[4:5]
	v_cmp_lt_i32_e64 s[4:5], -1, v32
	s_and_b64 s[10:11], s[10:11], s[2:3]
	s_and_b64 s[78:79], s[0:1], vcc
	s_and_b64 s[0:1], s[10:11], s[4:5]
	v_cmp_lt_i32_e64 s[2:3], -1, v19
	v_or_b32_e32 v21, v20, v24
	s_and_b64 s[0:1], s[0:1], vcc
	v_cmp_gt_i32_e32 vcc, s85, v24
	s_and_b64 s[2:3], s[12:13], s[2:3]
	s_and_b64 s[76:77], s[2:3], vcc
	v_cmp_lt_i32_e64 s[2:3], -1, v21
	v_or_b32_e32 v25, v23, v24
	s_and_b64 s[2:3], s[14:15], s[2:3]
	s_and_b64 s[82:83], s[2:3], vcc
	v_cmp_lt_i32_e64 s[2:3], -1, v25
	v_or_b32_e32 v26, v12, v24
	;; [unrolled: 4-line block ×6, first 2 shown]
	s_and_b64 s[2:3], s[18:19], s[2:3]
	v_ashrrev_i32_e32 v19, 31, v9
	s_and_b64 s[74:75], s[2:3], vcc
	v_cmp_lt_i32_e64 s[2:3], -1, v30
	v_xor_b32_e32 v19, s26, v19
	v_or_b32_e32 v31, v16, v24
	s_and_b64 s[2:3], s[8:9], s[2:3]
	v_xor_b32_e32 v17, v17, v19
	s_and_b64 s[68:69], s[2:3], vcc
	v_cmp_lt_i32_e64 s[2:3], -1, v31
	v_sub_u32_e32 v43, v17, v19
	s_and_b64 s[2:3], s[10:11], s[2:3]
	v_or_b32_e32 v15, v15, v43
	s_and_b64 s[70:71], s[2:3], vcc
	v_cmp_lt_i32_e32 vcc, -1, v15
	v_or_b32_e32 v15, v20, v43
	s_and_b64 s[12:13], s[12:13], vcc
	v_cmp_lt_i32_e32 vcc, -1, v15
	v_or_b32_e32 v15, v23, v43
	s_and_b64 s[14:15], s[14:15], vcc
	v_cmp_lt_i32_e32 vcc, -1, v15
	v_or_b32_e32 v12, v12, v43
	s_and_b64 s[16:17], s[16:17], vcc
	v_cmp_lt_i32_e32 vcc, -1, v12
	v_or_b32_e32 v12, v18, v43
	s_and_b64 s[20:21], s[20:21], vcc
	v_cmp_lt_i32_e32 vcc, -1, v12
	v_or_b32_e32 v12, v22, v43
	s_and_b64 s[22:23], s[22:23], vcc
	v_cmp_lt_i32_e32 vcc, -1, v12
	v_mul_lo_u32 v12, v6, s44
	v_mul_lo_u32 v15, v42, s45
	;; [unrolled: 1-line block ×4, first 2 shown]
	s_and_b64 s[24:25], s[24:25], vcc
	v_cmp_eq_u32_e32 vcc, v12, v3
	v_cmp_eq_u32_e64 s[2:3], v15, v4
	v_cmp_eq_u32_e64 s[4:5], v17, v8
	;; [unrolled: 1-line block ×3, first 2 shown]
	v_mul_lo_u32 v3, v24, s44
	s_and_b64 s[26:27], vcc, s[2:3]
	s_and_b64 s[28:29], vcc, s[4:5]
	;; [unrolled: 1-line block ×3, first 2 shown]
	v_cmp_eq_u32_e32 vcc, v3, v11
	v_mul_lo_u32 v3, v43, s44
	s_and_b64 s[34:35], vcc, s[2:3]
	s_and_b64 s[36:37], vcc, s[4:5]
	;; [unrolled: 1-line block ×3, first 2 shown]
	v_cmp_eq_u32_e32 vcc, v3, v9
	v_or_b32_e32 v3, v7, v43
	s_and_b64 s[42:43], vcc, s[2:3]
	s_and_b64 s[48:49], vcc, s[4:5]
	;; [unrolled: 1-line block ×3, first 2 shown]
	v_cmp_lt_i32_e32 vcc, -1, v3
	v_or_b32_e32 v3, v14, v43
	s_and_b64 s[2:3], s[18:19], vcc
	v_cmp_lt_i32_e32 vcc, -1, v3
	v_or_b32_e32 v3, v16, v43
	s_and_b64 s[4:5], s[8:9], vcc
	v_cmp_lt_i32_e32 vcc, -1, v3
	v_mul_lo_u32 v3, v54, s46
	v_mul_lo_u32 v4, v56, s46
	;; [unrolled: 1-line block ×3, first 2 shown]
	s_and_b64 s[6:7], s[10:11], vcc
	v_cmp_gt_i32_e32 vcc, s85, v43
	v_cmp_eq_u32_e64 s[50:51], v3, v2
	v_cmp_eq_u32_e64 s[52:53], v4, v10
	;; [unrolled: 1-line block ×3, first 2 shown]
	v_readlane_b32 s88, v126, 16
	s_and_b64 s[90:91], s[12:13], vcc
	s_and_b64 s[64:65], s[14:15], vcc
	;; [unrolled: 1-line block ×9, first 2 shown]
	s_and_b64 vcc, s[26:27], s[50:51]
	s_and_b64 s[2:3], s[26:27], s[52:53]
	s_and_b64 s[4:5], s[26:27], s[54:55]
	;; [unrolled: 1-line block ×26, first 2 shown]
	v_mul_lo_u32 v76, v74, s88
	v_readlane_b32 s56, v126, 17
	v_mul_lo_u32 v18, v6, s86
	v_mul_lo_u32 v36, v24, s86
	;; [unrolled: 1-line block ×3, first 2 shown]
	v_readlane_b32 s56, v126, 22
	v_ashrrev_i32_e32 v3, 31, v2
	v_readlane_b32 s57, v126, 23
	v_mul_lo_u32 v57, v43, s86
	v_add_u32_e32 v6, v42, v18
	v_lshl_add_u64 v[2:3], v[2:3], 2, s[56:57]
	v_readlane_b32 s56, v126, 18
	v_readlane_b32 s57, v126, 19
	v_add_u32_e32 v12, v48, v18
	v_mul_lo_u32 v4, s56, v75
	v_readlane_b32 s56, v126, 7
	v_ashrrev_i32_e32 v5, 31, v4
	v_readlane_b32 s57, v126, 8
	v_add_u32_e32 v18, v55, v18
	v_add_u32_e32 v24, v42, v36
	v_lshl_add_u64 v[4:5], v[4:5], 2, s[56:57]
	v_add_u32_e32 v30, v48, v36
	v_add_u32_e32 v36, v55, v36
	;; [unrolled: 1-line block ×5, first 2 shown]
	v_readlane_b32 s56, v126, 18
	v_mul_lo_u32 v10, v6, s87
	v_mul_lo_u32 v16, v12, s87
	;; [unrolled: 1-line block ×9, first 2 shown]
	v_readlane_b32 s57, v126, 19
	v_add_u32_e32 v6, v54, v10
	v_add_u32_e32 v8, v56, v10
	;; [unrolled: 1-line block ×27, first 2 shown]
	s_mul_i32 s56, s57, s88
	v_add_u32_e32 v77, s88, v76
	v_ashrrev_i32_e32 v7, 31, v6
	v_ashrrev_i32_e32 v9, 31, v8
	;; [unrolled: 1-line block ×27, first 2 shown]
	v_mul_lo_u32 v60, s56, v74
	s_mov_b64 s[88:89], 0
	s_branch .LBB18_5
.LBB18_4:                               ;   in Loop: Header=BB18_5 Depth=2
	s_or_b64 exec, exec, s[56:57]
	s_waitcnt vmcnt(26)
	v_fma_f32 v61, v79, v61, v78
	v_cndmask_b32_e32 v61, v78, v61, vcc
	s_waitcnt vmcnt(25)
	v_fma_f32 v62, v80, v82, v61
	v_cndmask_b32_e64 v61, v61, v62, s[2:3]
	s_waitcnt vmcnt(24)
	v_fma_f32 v62, v83, v81, v61
	v_cndmask_b32_e64 v61, v61, v62, s[4:5]
	;; [unrolled: 3-line block ×24, first 2 shown]
	s_mov_b64 s[56:57], 0x6c
	v_add_u32_e32 v76, 1, v76
	s_waitcnt vmcnt(1)
	v_fma_f32 v62, v66, v68, v61
	v_lshl_add_u64 v[2:3], v[2:3], 0, s[56:57]
	v_cmp_ge_i32_e64 s[56:57], v76, v77
	v_cndmask_b32_e64 v61, v61, v62, s[52:53]
	s_or_b64 s[88:89], s[56:57], s[88:89]
	v_readlane_b32 s56, v126, 18
	s_waitcnt vmcnt(0)
	v_fma_f32 v62, v69, v67, v61
	v_readlane_b32 s57, v126, 19
	v_cndmask_b32_e64 v78, v61, v62, s[54:55]
	s_nop 0
	v_add_u32_e32 v60, s57, v60
	s_andn2_b64 exec, exec, s[88:89]
	s_cbranch_execz .LBB18_59
.LBB18_5:                               ;   Parent Loop BB18_2 Depth=1
                                        ; =>  This Inner Loop Header: Depth=2
	global_load_dword v79, v[2:3], off
	v_ashrrev_i32_e32 v61, 31, v60
	v_lshl_add_u64 v[62:63], v[60:61], 2, v[4:5]
	v_mov_b32_e32 v61, 0
	s_mov_b64 s[56:57], exec
	v_readlane_b32 s86, v126, 51
	v_readlane_b32 s87, v126, 52
	s_and_b64 s[86:87], s[56:57], s[86:87]
	s_mov_b64 exec, s[86:87]
	s_cbranch_execz .LBB18_7
; %bb.6:                                ;   in Loop: Header=BB18_5 Depth=2
	v_lshl_add_u64 v[64:65], v[6:7], 2, v[62:63]
	global_load_dword v61, v[64:65], off
.LBB18_7:                               ;   in Loop: Header=BB18_5 Depth=2
	s_or_b64 exec, exec, s[56:57]
	global_load_dword v80, v[2:3], off offset:4
	v_mov_b32_e32 v81, 0
	v_mov_b32_e32 v82, 0
	s_mov_b64 s[56:57], exec
	v_readlane_b32 s86, v126, 53
	v_readlane_b32 s87, v126, 54
	s_and_b64 s[86:87], s[56:57], s[86:87]
	s_mov_b64 exec, s[86:87]
	s_cbranch_execz .LBB18_9
; %bb.8:                                ;   in Loop: Header=BB18_5 Depth=2
	v_lshl_add_u64 v[64:65], v[8:9], 2, v[62:63]
	global_load_dword v82, v[64:65], off
.LBB18_9:                               ;   in Loop: Header=BB18_5 Depth=2
	s_or_b64 exec, exec, s[56:57]
	global_load_dword v83, v[2:3], off offset:8
	s_mov_b64 s[56:57], exec
	v_readlane_b32 s86, v126, 55
	v_readlane_b32 s87, v126, 56
	s_and_b64 s[86:87], s[56:57], s[86:87]
	s_mov_b64 exec, s[86:87]
	s_cbranch_execz .LBB18_11
; %bb.10:                               ;   in Loop: Header=BB18_5 Depth=2
	v_lshl_add_u64 v[64:65], v[10:11], 2, v[62:63]
	global_load_dword v81, v[64:65], off
.LBB18_11:                              ;   in Loop: Header=BB18_5 Depth=2
	s_or_b64 exec, exec, s[56:57]
	global_load_dword v84, v[2:3], off offset:12
	v_mov_b32_e32 v85, 0
	v_mov_b32_e32 v86, 0
	s_mov_b64 s[56:57], exec
	v_readlane_b32 s86, v126, 57
	v_readlane_b32 s87, v126, 58
	s_and_b64 s[86:87], s[56:57], s[86:87]
	s_mov_b64 exec, s[86:87]
	s_cbranch_execz .LBB18_13
; %bb.12:                               ;   in Loop: Header=BB18_5 Depth=2
	v_lshl_add_u64 v[64:65], v[12:13], 2, v[62:63]
	global_load_dword v86, v[64:65], off
.LBB18_13:                              ;   in Loop: Header=BB18_5 Depth=2
	s_or_b64 exec, exec, s[56:57]
	global_load_dword v87, v[2:3], off offset:16
	s_mov_b64 s[56:57], exec
	v_readlane_b32 s86, v126, 59
	v_readlane_b32 s87, v126, 60
	s_and_b64 s[86:87], s[56:57], s[86:87]
	s_mov_b64 exec, s[86:87]
	s_cbranch_execz .LBB18_15
; %bb.14:                               ;   in Loop: Header=BB18_5 Depth=2
	v_lshl_add_u64 v[64:65], v[14:15], 2, v[62:63]
	global_load_dword v85, v[64:65], off
.LBB18_15:                              ;   in Loop: Header=BB18_5 Depth=2
	s_or_b64 exec, exec, s[56:57]
	global_load_dword v88, v[2:3], off offset:20
	v_mov_b32_e32 v89, 0
	v_mov_b32_e32 v90, 0
	s_mov_b64 s[56:57], exec
	v_readlane_b32 s86, v126, 61
	v_readlane_b32 s87, v126, 62
	s_and_b64 s[86:87], s[56:57], s[86:87]
	s_mov_b64 exec, s[86:87]
	s_cbranch_execz .LBB18_17
; %bb.16:                               ;   in Loop: Header=BB18_5 Depth=2
	v_lshl_add_u64 v[64:65], v[16:17], 2, v[62:63]
	global_load_dword v90, v[64:65], off
.LBB18_17:                              ;   in Loop: Header=BB18_5 Depth=2
	s_or_b64 exec, exec, s[56:57]
	global_load_dword v91, v[2:3], off offset:24
	s_mov_b64 s[56:57], exec
	v_readlane_b32 s86, v126, 63
	v_readlane_b32 s87, v127, 0
	s_and_b64 s[86:87], s[56:57], s[86:87]
	s_mov_b64 exec, s[86:87]
	s_cbranch_execz .LBB18_19
; %bb.18:                               ;   in Loop: Header=BB18_5 Depth=2
	v_lshl_add_u64 v[64:65], v[18:19], 2, v[62:63]
	global_load_dword v89, v[64:65], off
.LBB18_19:                              ;   in Loop: Header=BB18_5 Depth=2
	s_or_b64 exec, exec, s[56:57]
	global_load_dword v92, v[2:3], off offset:28
	v_mov_b32_e32 v93, 0
	v_mov_b32_e32 v94, 0
	s_and_saveexec_b64 s[56:57], s[78:79]
	s_cbranch_execz .LBB18_21
; %bb.20:                               ;   in Loop: Header=BB18_5 Depth=2
	v_lshl_add_u64 v[64:65], v[20:21], 2, v[62:63]
	global_load_dword v94, v[64:65], off
.LBB18_21:                              ;   in Loop: Header=BB18_5 Depth=2
	s_or_b64 exec, exec, s[56:57]
	global_load_dword v95, v[2:3], off offset:32
	s_and_saveexec_b64 s[56:57], s[0:1]
	s_cbranch_execz .LBB18_23
; %bb.22:                               ;   in Loop: Header=BB18_5 Depth=2
	v_lshl_add_u64 v[64:65], v[22:23], 2, v[62:63]
	global_load_dword v93, v[64:65], off
.LBB18_23:                              ;   in Loop: Header=BB18_5 Depth=2
	s_or_b64 exec, exec, s[56:57]
	global_load_dword v96, v[2:3], off offset:36
	v_mov_b32_e32 v97, 0
	v_mov_b32_e32 v98, 0
	s_and_saveexec_b64 s[56:57], s[76:77]
	s_cbranch_execz .LBB18_25
; %bb.24:                               ;   in Loop: Header=BB18_5 Depth=2
	v_lshl_add_u64 v[64:65], v[24:25], 2, v[62:63]
	global_load_dword v98, v[64:65], off
.LBB18_25:                              ;   in Loop: Header=BB18_5 Depth=2
	s_or_b64 exec, exec, s[56:57]
	global_load_dword v99, v[2:3], off offset:40
	s_and_saveexec_b64 s[56:57], s[82:83]
	;; [unrolled: 18-line block ×10, first 2 shown]
	s_cbranch_execz .LBB18_4
; %bb.58:                               ;   in Loop: Header=BB18_5 Depth=2
	v_lshl_add_u64 v[62:63], v[58:59], 2, v[62:63]
	global_load_dword v67, v[62:63], off
	s_branch .LBB18_4
.LBB18_59:                              ;   in Loop: Header=BB18_2 Depth=1
	s_or_b64 exec, exec, s[88:89]
	v_readlane_b32 s16, v126, 47
	v_readlane_b32 s17, v126, 48
	s_branch .LBB18_61
.LBB18_60:                              ;   in Loop: Header=BB18_2 Depth=1
	v_mov_b32_e32 v78, 0
.LBB18_61:                              ;   in Loop: Header=BB18_2 Depth=1
	v_readlane_b32 s4, v126, 49
	v_readlane_b32 s5, v126, 50
; %bb.62:                               ;   in Loop: Header=BB18_2 Depth=1
	v_mul_lo_u32 v2, v75, s17
	v_readlane_b32 s0, v126, 20
	v_ashrrev_i32_e32 v3, 31, v2
	v_readlane_b32 s1, v126, 21
	s_nop 1
	v_lshl_add_u64 v[2:3], v[2:3], 2, s[0:1]
	v_readlane_b32 s0, v126, 24
	v_readlane_b32 s1, v126, 25
	v_readlane_b32 s2, v126, 26
	v_mul_lo_u32 v4, s0, v74
	v_ashrrev_i32_e32 v5, 31, v4
	v_lshl_add_u64 v[2:3], v[4:5], 2, v[2:3]
	v_mul_lo_u32 v4, s1, v73
	v_ashrrev_i32_e32 v5, 31, v4
	v_readlane_b32 s0, v126, 28
	v_lshl_add_u64 v[2:3], v[4:5], 2, v[2:3]
	v_mul_lo_u32 v4, s2, v72
	v_readlane_b32 s1, v126, 29
	v_readlane_b32 s3, v126, 27
	v_ashrrev_i32_e32 v5, 31, v4
	v_lshl_add_u64 v[0:1], v[0:1], 0, s[0:1]
	v_readlane_b32 s0, v126, 5
	v_lshl_add_u64 v[2:3], v[4:5], 2, v[2:3]
	v_mul_lo_u32 v4, s3, v71
	v_readlane_b32 s1, v126, 6
	v_ashrrev_i32_e32 v5, 31, v4
	v_lshl_add_u64 v[2:3], v[4:5], 2, v[2:3]
	v_cmp_le_i64_e32 vcc, s[0:1], v[0:1]
	s_or_b64 s[4:5], vcc, s[4:5]
	global_store_dword v[2:3], v78, off
	s_andn2_b64 exec, exec, s[4:5]
	s_cbranch_execnz .LBB18_2
.LBB18_63:
	s_endpgm
	.section	.rodata,"a",@progbits
	.p2align	6, 0x0
	.amdhsa_kernel _ZN2at6native12_GLOBAL__N_143conv_depthwise3d_cuda_backward_input_kernelIffLi3ELi3ELi3ELi1ELi1ELi1ELin1ELin1ELin1EEEvN5torch10headeronly6detail27GenericPackedTensorAccessorINS5_14TensorAccessorIN3c108ArrayRefIlEEKT_Lm4ENS4_16DefaultPtrTraitsEiEENS_6detail16IndexBoundsCheckILm5EiEESC_Lm5ESD_iEENS6_INS7_ISA_SB_Lm4ESD_iEESH_SB_Lm5ESD_iEESI_iiiiiiiii
		.amdhsa_group_segment_fixed_size 0
		.amdhsa_private_segment_fixed_size 28
		.amdhsa_kernarg_size 440
		.amdhsa_user_sgpr_count 2
		.amdhsa_user_sgpr_dispatch_ptr 0
		.amdhsa_user_sgpr_queue_ptr 0
		.amdhsa_user_sgpr_kernarg_segment_ptr 1
		.amdhsa_user_sgpr_dispatch_id 0
		.amdhsa_user_sgpr_kernarg_preload_length 0
		.amdhsa_user_sgpr_kernarg_preload_offset 0
		.amdhsa_user_sgpr_private_segment_size 0
		.amdhsa_uses_dynamic_stack 0
		.amdhsa_enable_private_segment 1
		.amdhsa_system_sgpr_workgroup_id_x 1
		.amdhsa_system_sgpr_workgroup_id_y 0
		.amdhsa_system_sgpr_workgroup_id_z 0
		.amdhsa_system_sgpr_workgroup_info 0
		.amdhsa_system_vgpr_workitem_id 0
		.amdhsa_next_free_vgpr 128
		.amdhsa_next_free_sgpr 100
		.amdhsa_accum_offset 128
		.amdhsa_reserve_vcc 1
		.amdhsa_float_round_mode_32 0
		.amdhsa_float_round_mode_16_64 0
		.amdhsa_float_denorm_mode_32 3
		.amdhsa_float_denorm_mode_16_64 3
		.amdhsa_dx10_clamp 1
		.amdhsa_ieee_mode 1
		.amdhsa_fp16_overflow 0
		.amdhsa_tg_split 0
		.amdhsa_exception_fp_ieee_invalid_op 0
		.amdhsa_exception_fp_denorm_src 0
		.amdhsa_exception_fp_ieee_div_zero 0
		.amdhsa_exception_fp_ieee_overflow 0
		.amdhsa_exception_fp_ieee_underflow 0
		.amdhsa_exception_fp_ieee_inexact 0
		.amdhsa_exception_int_div_zero 0
	.end_amdhsa_kernel
	.section	.text._ZN2at6native12_GLOBAL__N_143conv_depthwise3d_cuda_backward_input_kernelIffLi3ELi3ELi3ELi1ELi1ELi1ELin1ELin1ELin1EEEvN5torch10headeronly6detail27GenericPackedTensorAccessorINS5_14TensorAccessorIN3c108ArrayRefIlEEKT_Lm4ENS4_16DefaultPtrTraitsEiEENS_6detail16IndexBoundsCheckILm5EiEESC_Lm5ESD_iEENS6_INS7_ISA_SB_Lm4ESD_iEESH_SB_Lm5ESD_iEESI_iiiiiiiii,"axG",@progbits,_ZN2at6native12_GLOBAL__N_143conv_depthwise3d_cuda_backward_input_kernelIffLi3ELi3ELi3ELi1ELi1ELi1ELin1ELin1ELin1EEEvN5torch10headeronly6detail27GenericPackedTensorAccessorINS5_14TensorAccessorIN3c108ArrayRefIlEEKT_Lm4ENS4_16DefaultPtrTraitsEiEENS_6detail16IndexBoundsCheckILm5EiEESC_Lm5ESD_iEENS6_INS7_ISA_SB_Lm4ESD_iEESH_SB_Lm5ESD_iEESI_iiiiiiiii,comdat
.Lfunc_end18:
	.size	_ZN2at6native12_GLOBAL__N_143conv_depthwise3d_cuda_backward_input_kernelIffLi3ELi3ELi3ELi1ELi1ELi1ELin1ELin1ELin1EEEvN5torch10headeronly6detail27GenericPackedTensorAccessorINS5_14TensorAccessorIN3c108ArrayRefIlEEKT_Lm4ENS4_16DefaultPtrTraitsEiEENS_6detail16IndexBoundsCheckILm5EiEESC_Lm5ESD_iEENS6_INS7_ISA_SB_Lm4ESD_iEESH_SB_Lm5ESD_iEESI_iiiiiiiii, .Lfunc_end18-_ZN2at6native12_GLOBAL__N_143conv_depthwise3d_cuda_backward_input_kernelIffLi3ELi3ELi3ELi1ELi1ELi1ELin1ELin1ELin1EEEvN5torch10headeronly6detail27GenericPackedTensorAccessorINS5_14TensorAccessorIN3c108ArrayRefIlEEKT_Lm4ENS4_16DefaultPtrTraitsEiEENS_6detail16IndexBoundsCheckILm5EiEESC_Lm5ESD_iEENS6_INS7_ISA_SB_Lm4ESD_iEESH_SB_Lm5ESD_iEESI_iiiiiiiii
                                        ; -- End function
	.set _ZN2at6native12_GLOBAL__N_143conv_depthwise3d_cuda_backward_input_kernelIffLi3ELi3ELi3ELi1ELi1ELi1ELin1ELin1ELin1EEEvN5torch10headeronly6detail27GenericPackedTensorAccessorINS5_14TensorAccessorIN3c108ArrayRefIlEEKT_Lm4ENS4_16DefaultPtrTraitsEiEENS_6detail16IndexBoundsCheckILm5EiEESC_Lm5ESD_iEENS6_INS7_ISA_SB_Lm4ESD_iEESH_SB_Lm5ESD_iEESI_iiiiiiiii.num_vgpr, 128
	.set _ZN2at6native12_GLOBAL__N_143conv_depthwise3d_cuda_backward_input_kernelIffLi3ELi3ELi3ELi1ELi1ELi1ELin1ELin1ELin1EEEvN5torch10headeronly6detail27GenericPackedTensorAccessorINS5_14TensorAccessorIN3c108ArrayRefIlEEKT_Lm4ENS4_16DefaultPtrTraitsEiEENS_6detail16IndexBoundsCheckILm5EiEESC_Lm5ESD_iEENS6_INS7_ISA_SB_Lm4ESD_iEESH_SB_Lm5ESD_iEESI_iiiiiiiii.num_agpr, 0
	.set _ZN2at6native12_GLOBAL__N_143conv_depthwise3d_cuda_backward_input_kernelIffLi3ELi3ELi3ELi1ELi1ELi1ELin1ELin1ELin1EEEvN5torch10headeronly6detail27GenericPackedTensorAccessorINS5_14TensorAccessorIN3c108ArrayRefIlEEKT_Lm4ENS4_16DefaultPtrTraitsEiEENS_6detail16IndexBoundsCheckILm5EiEESC_Lm5ESD_iEENS6_INS7_ISA_SB_Lm4ESD_iEESH_SB_Lm5ESD_iEESI_iiiiiiiii.numbered_sgpr, 100
	.set _ZN2at6native12_GLOBAL__N_143conv_depthwise3d_cuda_backward_input_kernelIffLi3ELi3ELi3ELi1ELi1ELi1ELin1ELin1ELin1EEEvN5torch10headeronly6detail27GenericPackedTensorAccessorINS5_14TensorAccessorIN3c108ArrayRefIlEEKT_Lm4ENS4_16DefaultPtrTraitsEiEENS_6detail16IndexBoundsCheckILm5EiEESC_Lm5ESD_iEENS6_INS7_ISA_SB_Lm4ESD_iEESH_SB_Lm5ESD_iEESI_iiiiiiiii.num_named_barrier, 0
	.set _ZN2at6native12_GLOBAL__N_143conv_depthwise3d_cuda_backward_input_kernelIffLi3ELi3ELi3ELi1ELi1ELi1ELin1ELin1ELin1EEEvN5torch10headeronly6detail27GenericPackedTensorAccessorINS5_14TensorAccessorIN3c108ArrayRefIlEEKT_Lm4ENS4_16DefaultPtrTraitsEiEENS_6detail16IndexBoundsCheckILm5EiEESC_Lm5ESD_iEENS6_INS7_ISA_SB_Lm4ESD_iEESH_SB_Lm5ESD_iEESI_iiiiiiiii.private_seg_size, 28
	.set _ZN2at6native12_GLOBAL__N_143conv_depthwise3d_cuda_backward_input_kernelIffLi3ELi3ELi3ELi1ELi1ELi1ELin1ELin1ELin1EEEvN5torch10headeronly6detail27GenericPackedTensorAccessorINS5_14TensorAccessorIN3c108ArrayRefIlEEKT_Lm4ENS4_16DefaultPtrTraitsEiEENS_6detail16IndexBoundsCheckILm5EiEESC_Lm5ESD_iEENS6_INS7_ISA_SB_Lm4ESD_iEESH_SB_Lm5ESD_iEESI_iiiiiiiii.uses_vcc, 1
	.set _ZN2at6native12_GLOBAL__N_143conv_depthwise3d_cuda_backward_input_kernelIffLi3ELi3ELi3ELi1ELi1ELi1ELin1ELin1ELin1EEEvN5torch10headeronly6detail27GenericPackedTensorAccessorINS5_14TensorAccessorIN3c108ArrayRefIlEEKT_Lm4ENS4_16DefaultPtrTraitsEiEENS_6detail16IndexBoundsCheckILm5EiEESC_Lm5ESD_iEENS6_INS7_ISA_SB_Lm4ESD_iEESH_SB_Lm5ESD_iEESI_iiiiiiiii.uses_flat_scratch, 0
	.set _ZN2at6native12_GLOBAL__N_143conv_depthwise3d_cuda_backward_input_kernelIffLi3ELi3ELi3ELi1ELi1ELi1ELin1ELin1ELin1EEEvN5torch10headeronly6detail27GenericPackedTensorAccessorINS5_14TensorAccessorIN3c108ArrayRefIlEEKT_Lm4ENS4_16DefaultPtrTraitsEiEENS_6detail16IndexBoundsCheckILm5EiEESC_Lm5ESD_iEENS6_INS7_ISA_SB_Lm4ESD_iEESH_SB_Lm5ESD_iEESI_iiiiiiiii.has_dyn_sized_stack, 0
	.set _ZN2at6native12_GLOBAL__N_143conv_depthwise3d_cuda_backward_input_kernelIffLi3ELi3ELi3ELi1ELi1ELi1ELin1ELin1ELin1EEEvN5torch10headeronly6detail27GenericPackedTensorAccessorINS5_14TensorAccessorIN3c108ArrayRefIlEEKT_Lm4ENS4_16DefaultPtrTraitsEiEENS_6detail16IndexBoundsCheckILm5EiEESC_Lm5ESD_iEENS6_INS7_ISA_SB_Lm4ESD_iEESH_SB_Lm5ESD_iEESI_iiiiiiiii.has_recursion, 0
	.set _ZN2at6native12_GLOBAL__N_143conv_depthwise3d_cuda_backward_input_kernelIffLi3ELi3ELi3ELi1ELi1ELi1ELin1ELin1ELin1EEEvN5torch10headeronly6detail27GenericPackedTensorAccessorINS5_14TensorAccessorIN3c108ArrayRefIlEEKT_Lm4ENS4_16DefaultPtrTraitsEiEENS_6detail16IndexBoundsCheckILm5EiEESC_Lm5ESD_iEENS6_INS7_ISA_SB_Lm4ESD_iEESH_SB_Lm5ESD_iEESI_iiiiiiiii.has_indirect_call, 0
	.section	.AMDGPU.csdata,"",@progbits
; Kernel info:
; codeLenInByte = 6428
; TotalNumSgprs: 106
; NumVgprs: 128
; NumAgprs: 0
; TotalNumVgprs: 128
; ScratchSize: 28
; MemoryBound: 0
; FloatMode: 240
; IeeeMode: 1
; LDSByteSize: 0 bytes/workgroup (compile time only)
; SGPRBlocks: 13
; VGPRBlocks: 15
; NumSGPRsForWavesPerEU: 106
; NumVGPRsForWavesPerEU: 128
; AccumOffset: 128
; Occupancy: 4
; WaveLimiterHint : 0
; COMPUTE_PGM_RSRC2:SCRATCH_EN: 1
; COMPUTE_PGM_RSRC2:USER_SGPR: 2
; COMPUTE_PGM_RSRC2:TRAP_HANDLER: 0
; COMPUTE_PGM_RSRC2:TGID_X_EN: 1
; COMPUTE_PGM_RSRC2:TGID_Y_EN: 0
; COMPUTE_PGM_RSRC2:TGID_Z_EN: 0
; COMPUTE_PGM_RSRC2:TIDIG_COMP_CNT: 0
; COMPUTE_PGM_RSRC3_GFX90A:ACCUM_OFFSET: 31
; COMPUTE_PGM_RSRC3_GFX90A:TG_SPLIT: 0
	.section	.text._ZN2at6native12_GLOBAL__N_143conv_depthwise3d_cuda_backward_input_kernelIffLi3ELi3ELi3ELin1ELin1ELin1ELi1ELi1ELi1EEEvN5torch10headeronly6detail27GenericPackedTensorAccessorINS5_14TensorAccessorIN3c108ArrayRefIlEEKT_Lm4ENS4_16DefaultPtrTraitsEiEENS_6detail16IndexBoundsCheckILm5EiEESC_Lm5ESD_iEENS6_INS7_ISA_SB_Lm4ESD_iEESH_SB_Lm5ESD_iEESI_iiiiiiiii,"axG",@progbits,_ZN2at6native12_GLOBAL__N_143conv_depthwise3d_cuda_backward_input_kernelIffLi3ELi3ELi3ELin1ELin1ELin1ELi1ELi1ELi1EEEvN5torch10headeronly6detail27GenericPackedTensorAccessorINS5_14TensorAccessorIN3c108ArrayRefIlEEKT_Lm4ENS4_16DefaultPtrTraitsEiEENS_6detail16IndexBoundsCheckILm5EiEESC_Lm5ESD_iEENS6_INS7_ISA_SB_Lm4ESD_iEESH_SB_Lm5ESD_iEESI_iiiiiiiii,comdat
	.globl	_ZN2at6native12_GLOBAL__N_143conv_depthwise3d_cuda_backward_input_kernelIffLi3ELi3ELi3ELin1ELin1ELin1ELi1ELi1ELi1EEEvN5torch10headeronly6detail27GenericPackedTensorAccessorINS5_14TensorAccessorIN3c108ArrayRefIlEEKT_Lm4ENS4_16DefaultPtrTraitsEiEENS_6detail16IndexBoundsCheckILm5EiEESC_Lm5ESD_iEENS6_INS7_ISA_SB_Lm4ESD_iEESH_SB_Lm5ESD_iEESI_iiiiiiiii ; -- Begin function _ZN2at6native12_GLOBAL__N_143conv_depthwise3d_cuda_backward_input_kernelIffLi3ELi3ELi3ELin1ELin1ELin1ELi1ELi1ELi1EEEvN5torch10headeronly6detail27GenericPackedTensorAccessorINS5_14TensorAccessorIN3c108ArrayRefIlEEKT_Lm4ENS4_16DefaultPtrTraitsEiEENS_6detail16IndexBoundsCheckILm5EiEESC_Lm5ESD_iEENS6_INS7_ISA_SB_Lm4ESD_iEESH_SB_Lm5ESD_iEESI_iiiiiiiii
	.p2align	8
	.type	_ZN2at6native12_GLOBAL__N_143conv_depthwise3d_cuda_backward_input_kernelIffLi3ELi3ELi3ELin1ELin1ELin1ELi1ELi1ELi1EEEvN5torch10headeronly6detail27GenericPackedTensorAccessorINS5_14TensorAccessorIN3c108ArrayRefIlEEKT_Lm4ENS4_16DefaultPtrTraitsEiEENS_6detail16IndexBoundsCheckILm5EiEESC_Lm5ESD_iEENS6_INS7_ISA_SB_Lm4ESD_iEESH_SB_Lm5ESD_iEESI_iiiiiiiii,@function
_ZN2at6native12_GLOBAL__N_143conv_depthwise3d_cuda_backward_input_kernelIffLi3ELi3ELi3ELin1ELin1ELin1ELi1ELi1ELi1EEEvN5torch10headeronly6detail27GenericPackedTensorAccessorINS5_14TensorAccessorIN3c108ArrayRefIlEEKT_Lm4ENS4_16DefaultPtrTraitsEiEENS_6detail16IndexBoundsCheckILm5EiEESC_Lm5ESD_iEENS6_INS7_ISA_SB_Lm4ESD_iEESH_SB_Lm5ESD_iEESI_iiiiiiiii: ; @_ZN2at6native12_GLOBAL__N_143conv_depthwise3d_cuda_backward_input_kernelIffLi3ELi3ELi3ELin1ELin1ELin1ELi1ELi1ELi1EEEvN5torch10headeronly6detail27GenericPackedTensorAccessorINS5_14TensorAccessorIN3c108ArrayRefIlEEKT_Lm4ENS4_16DefaultPtrTraitsEiEENS_6detail16IndexBoundsCheckILm5EiEESC_Lm5ESD_iEENS6_INS7_ISA_SB_Lm4ESD_iEESH_SB_Lm5ESD_iEESI_iiiiiiiii
; %bb.0:
	s_load_dwordx4 s[12:15], s[0:1], 0x38
	s_load_dwordx2 s[28:29], s[0:1], 0x48
	s_load_dword s4, s[0:1], 0xc4
	v_mov_b32_e32 v3, s2
	v_mov_b32_e32 v1, 0
	s_waitcnt lgkmcnt(0)
	s_abs_i32 s33, s13
	v_cvt_f32_u32_e32 v2, s33
	s_add_u32 s2, s0, 0xb8
	s_mul_i32 s30, s29, s12
	s_addc_u32 s3, s1, 0
	v_rcp_iflag_f32_e32 v2, v2
	s_and_b32 s4, s4, 0xffff
	s_ashr_i32 s31, s30, 31
	v_mad_u64_u32 v[0:1], s[6:7], s4, v3, v[0:1]
	v_mul_f32_e32 v2, 0x4f7ffffe, v2
	v_cvt_u32_f32_e32 v2, v2
	v_cmp_gt_i64_e32 vcc, s[30:31], v[0:1]
	v_readfirstlane_b32 s5, v2
	s_and_saveexec_b64 s[6:7], vcc
	s_cbranch_execz .LBB19_62
; %bb.1:
	s_load_dwordx4 s[16:19], s[0:1], 0xc
	s_load_dwordx2 s[6:7], s[0:1], 0x0
	s_sub_i32 s8, 0, s33
                                        ; implicit-def: $vgpr127 : SGPR spill to VGPR lane
	s_mul_i32 s9, s8, s5
	s_mul_hi_u32 s9, s5, s9
	s_add_i32 s5, s5, s9
	s_waitcnt lgkmcnt(0)
	v_writelane_b32 v127, s6, 0
	s_ashr_i32 s12, s13, 31
                                        ; kill: killed $sgpr2 killed $sgpr3
	s_load_dwordx2 s[38:39], s[0:1], 0xac
	v_writelane_b32 v127, s7, 1
	s_abs_i32 s7, s16
	s_mul_hi_u32 s5, s7, s5
	s_mul_i32 s9, s5, s33
	s_ashr_i32 s6, s16, 31
	s_sub_i32 s7, s7, s9
	s_xor_b32 s6, s6, s12
	s_add_i32 s9, s5, 1
	s_sub_i32 s10, s7, s33
	s_cmp_ge_u32 s7, s33
	s_cselect_b32 s5, s9, s5
	s_cselect_b32 s7, s10, s7
	s_add_i32 s9, s5, 1
	s_cmp_ge_u32 s7, s33
	s_cselect_b32 s5, s9, s5
	s_xor_b32 s5, s5, s6
	s_sub_i32 s16, s5, s6
	s_cmp_gt_i32 s16, 0
	s_load_dword s5, s[2:3], 0x0
	s_load_dwordx4 s[20:23], s[0:1], 0x9c
	s_load_dword s6, s[0:1], 0x7c
	s_cselect_b64 s[2:3], -1, 0
	s_abs_i32 s97, s28
	v_cvt_f32_u32_e32 v3, s97
	s_load_dwordx4 s[24:27], s[0:1], 0x50
	s_waitcnt lgkmcnt(0)
	v_writelane_b32 v127, s6, 2
	s_load_dwordx2 s[6:7], s[0:1], 0x60
	v_rcp_iflag_f32_e32 v3, v3
	s_load_dwordx2 s[40:41], s[0:1], 0x1c
	s_load_dwordx2 s[42:43], s[0:1], 0x30
                                        ; kill: killed $sgpr0 killed $sgpr1
	s_lshl_b32 s0, s39, 1
	s_abs_i32 s96, s15
	v_mul_f32_e32 v3, 0x4f7ffffe, v3
	v_cvt_u32_f32_e32 v3, v3
	s_waitcnt lgkmcnt(0)
	v_writelane_b32 v127, s6, 3
	v_cvt_f32_u32_e32 v4, s96
	s_abs_i32 s44, s14
	v_writelane_b32 v127, s7, 4
	v_writelane_b32 v127, s0, 5
	s_sub_i32 s0, 0, s97
	v_mul_lo_u32 v5, s0, v3
	v_mul_hi_u32 v5, v3, v5
	v_add_u32_e32 v3, v3, v5
	scratch_store_dword off, v3, off        ; 4-byte Folded Spill
	v_cvt_f32_u32_e32 v3, s44
	v_rcp_iflag_f32_e32 v4, v4
	s_sub_i32 s0, 0, s96
	s_mov_b32 s35, 0
	v_rcp_iflag_f32_e32 v3, v3
	v_mul_f32_e32 v4, 0x4f7ffffe, v4
	v_cvt_u32_f32_e32 v4, v4
	s_mul_i32 s34, s5, s4
	v_mul_f32_e32 v3, 0x4f7ffffe, v3
	v_cvt_u32_f32_e32 v3, v3
	v_mul_lo_u32 v5, s0, v4
	v_mul_hi_u32 v5, v4, v5
	v_add_u32_e32 v4, v4, v5
	s_sub_i32 s0, 0, s44
	scratch_store_dword off, v4, off offset:4 ; 4-byte Folded Spill
	v_mul_lo_u32 v4, s0, v3
	v_mul_hi_u32 v4, v3, v4
	v_add_u32_e32 v66, v3, v4
	v_mul_lo_u32 v3, s8, v2
	v_mul_hi_u32 v3, v2, v3
	v_add_u32_e32 v67, v2, v3
	v_cndmask_b32_e64 v2, 0, 1, s[2:3]
	s_lshl_b32 s99, s38, 1
	s_lshl_b32 s36, s23, 1
	s_ashr_i32 s37, s28, 31
	s_ashr_i32 s45, s15, 31
	;; [unrolled: 1-line block ×3, first 2 shown]
	s_mov_b64 s[46:47], 0
	v_cmp_ne_u32_e64 s[0:1], 1, v2
	s_branch .LBB19_4
.LBB19_2:                               ;   in Loop: Header=BB19_4 Depth=1
	s_or_b64 exec, exec, s[92:93]
.LBB19_3:                               ;   in Loop: Header=BB19_4 Depth=1
	v_mul_lo_u32 v2, v72, s29
	v_ashrrev_i32_e32 v3, 31, v2
	v_mul_lo_u32 v4, s24, v71
	v_lshl_add_u64 v[2:3], v[2:3], 2, s[42:43]
	v_ashrrev_i32_e32 v5, 31, v4
	v_lshl_add_u64 v[2:3], v[4:5], 2, v[2:3]
	v_mul_lo_u32 v4, s25, v70
	v_ashrrev_i32_e32 v5, 31, v4
	v_lshl_add_u64 v[2:3], v[4:5], 2, v[2:3]
	v_mul_lo_u32 v4, s26, v69
	;; [unrolled: 3-line block ×3, first 2 shown]
	v_lshl_add_u64 v[0:1], v[0:1], 0, s[34:35]
	v_ashrrev_i32_e32 v5, 31, v4
	v_cmp_le_i64_e32 vcc, s[30:31], v[0:1]
	v_lshl_add_u64 v[2:3], v[4:5], 2, v[2:3]
	s_or_b64 s[46:47], vcc, s[46:47]
	global_store_dword v[2:3], v74, off
	s_andn2_b64 exec, exec, s[46:47]
	s_cbranch_execz .LBB19_62
.LBB19_4:                               ; =>This Loop Header: Depth=1
                                        ;     Child Loop BB19_7 Depth 2
	scratch_load_dword v4, off, off         ; 4-byte Folded Reload
	v_sub_u32_e32 v3, 0, v0
	v_max_i32_e32 v3, v0, v3
	v_ashrrev_i32_e32 v2, 31, v0
	v_xor_b32_e32 v2, s37, v2
	s_waitcnt vmcnt(0)
	v_mul_hi_u32 v4, v3, v4
	v_mul_lo_u32 v5, v4, s97
	v_sub_u32_e32 v3, v3, v5
	v_add_u32_e32 v5, 1, v4
	v_cmp_le_u32_e32 vcc, s97, v3
	s_nop 1
	v_cndmask_b32_e32 v4, v4, v5, vcc
	v_subrev_u32_e32 v5, s97, v3
	v_cndmask_b32_e32 v3, v3, v5, vcc
	v_add_u32_e32 v5, 1, v4
	v_cmp_le_u32_e32 vcc, s97, v3
	s_nop 1
	v_cndmask_b32_e32 v3, v4, v5, vcc
	scratch_load_dword v5, off, off offset:4 ; 4-byte Folded Reload
	v_xor_b32_e32 v3, v3, v2
	v_sub_u32_e32 v2, v3, v2
	v_sub_u32_e32 v4, 0, v2
	v_max_i32_e32 v4, v2, v4
	v_mul_lo_u32 v3, v2, s28
	v_sub_u32_e32 v68, v0, v3
	v_ashrrev_i32_e32 v3, 31, v2
	v_xor_b32_e32 v3, s45, v3
	s_waitcnt vmcnt(0)
	v_mul_hi_u32 v5, v4, v5
	v_mul_lo_u32 v6, v5, s96
	v_sub_u32_e32 v4, v4, v6
	v_add_u32_e32 v6, 1, v5
	v_cmp_le_u32_e32 vcc, s96, v4
	s_nop 1
	v_cndmask_b32_e32 v5, v5, v6, vcc
	v_subrev_u32_e32 v6, s96, v4
	v_cndmask_b32_e32 v4, v4, v6, vcc
	v_add_u32_e32 v6, 1, v5
	v_cmp_le_u32_e32 vcc, s96, v4
	s_nop 1
	v_cndmask_b32_e32 v4, v5, v6, vcc
	v_xor_b32_e32 v4, v4, v3
	v_sub_u32_e32 v3, v4, v3
	v_mul_lo_u32 v4, v3, s15
	v_sub_u32_e32 v69, v2, v4
	v_sub_u32_e32 v4, 0, v3
	v_max_i32_e32 v4, v3, v4
	v_mul_hi_u32 v5, v4, v66
	v_mul_lo_u32 v6, v5, s44
	v_sub_u32_e32 v4, v4, v6
	v_add_u32_e32 v6, 1, v5
	v_cmp_le_u32_e32 vcc, s44, v4
	v_ashrrev_i32_e32 v2, 31, v3
	v_xor_b32_e32 v2, s98, v2
	v_cndmask_b32_e32 v5, v5, v6, vcc
	v_subrev_u32_e32 v6, s44, v4
	v_cndmask_b32_e32 v4, v4, v6, vcc
	v_add_u32_e32 v6, 1, v5
	v_cmp_le_u32_e32 vcc, s44, v4
	s_nop 1
	v_cndmask_b32_e32 v4, v5, v6, vcc
	v_xor_b32_e32 v4, v4, v2
	v_sub_u32_e32 v2, v4, v2
	v_mul_lo_u32 v4, v2, s14
	v_sub_u32_e32 v70, v3, v4
	v_sub_u32_e32 v4, 0, v2
	v_max_i32_e32 v4, v2, v4
	v_mul_hi_u32 v5, v4, v67
	v_mul_lo_u32 v6, v5, s33
	v_sub_u32_e32 v4, v4, v6
	v_add_u32_e32 v6, 1, v5
	v_cmp_le_u32_e32 vcc, s33, v4
	v_ashrrev_i32_e32 v3, 31, v2
	v_xor_b32_e32 v3, s12, v3
	v_cndmask_b32_e32 v5, v5, v6, vcc
	v_subrev_u32_e32 v6, s33, v4
	v_cndmask_b32_e32 v4, v4, v6, vcc
	v_add_u32_e32 v6, 1, v5
	v_cmp_le_u32_e32 vcc, s33, v4
	s_nop 1
	v_cndmask_b32_e32 v4, v5, v6, vcc
	v_xor_b32_e32 v4, v4, v3
	v_sub_u32_e32 v72, v4, v3
	v_mul_lo_u32 v3, v72, s13
	s_and_b64 vcc, exec, s[0:1]
	v_sub_u32_e32 v71, v2, v3
	s_cbranch_vccnz .LBB19_61
; %bb.5:                                ;   in Loop: Header=BB19_4 Depth=1
	v_add_u32_e32 v3, s21, v69
	v_add_u32_e32 v37, s22, v68
	;; [unrolled: 1-line block ×3, first 2 shown]
	v_or_b32_e32 v8, v37, v3
	v_cmp_gt_i32_e64 s[2:3], s18, v3
	v_or_b32_e32 v11, v8, v2
	v_cmp_gt_i32_e64 s[6:7], s19, v37
	v_subrev_u32_e32 v43, s39, v37
	v_cmp_lt_i32_e64 s[4:5], -1, v11
	s_and_b64 s[76:77], s[6:7], s[2:3]
	v_or_b32_e32 v13, v43, v3
	v_cmp_gt_i32_e32 vcc, s17, v2
	s_and_b64 s[4:5], s[76:77], s[4:5]
	v_or_b32_e32 v15, v13, v2
	v_cmp_gt_i32_e64 s[8:9], s19, v43
	s_and_b64 s[48:49], s[4:5], vcc
	v_cmp_lt_i32_e64 s[4:5], -1, v15
	s_and_b64 s[78:79], s[8:9], s[2:3]
	s_and_b64 s[4:5], s[78:79], s[4:5]
	s_and_b64 s[50:51], s[4:5], vcc
	v_readlane_b32 s4, v127, 5
	v_subrev_u32_e32 v7, s38, v3
	v_or_b32_e32 v6, v37, v7
	v_subrev_u32_e32 v58, s4, v37
	v_or_b32_e32 v17, v58, v3
	v_or_b32_e32 v19, v17, v2
	v_cmp_gt_i32_e64 s[10:11], s19, v58
	v_cmp_lt_i32_e64 s[4:5], -1, v19
	s_and_b64 s[80:81], s[10:11], s[2:3]
	s_and_b64 s[2:3], s[80:81], s[4:5]
	s_and_b64 s[52:53], s[2:3], vcc
	v_cmp_gt_i32_e64 s[2:3], s18, v7
	v_or_b32_e32 v20, v6, v2
	v_or_b32_e32 v12, v43, v7
	v_cmp_lt_i32_e64 s[4:5], -1, v20
	s_and_b64 s[82:83], s[6:7], s[2:3]
	s_and_b64 s[4:5], s[82:83], s[4:5]
	v_or_b32_e32 v21, v12, v2
	v_or_b32_e32 v16, v58, v7
	s_and_b64 s[54:55], s[4:5], vcc
	v_cmp_lt_i32_e64 s[4:5], -1, v21
	s_and_b64 s[84:85], s[8:9], s[2:3]
	s_and_b64 s[4:5], s[84:85], s[4:5]
	v_or_b32_e32 v22, v16, v2
	v_subrev_u32_e32 v5, s99, v3
	s_and_b64 s[56:57], s[4:5], vcc
	v_cmp_lt_i32_e64 s[4:5], -1, v22
	s_and_b64 s[86:87], s[10:11], s[2:3]
	v_or_b32_e32 v4, v37, v5
	s_and_b64 s[2:3], s[86:87], s[4:5]
	s_and_b64 s[58:59], s[2:3], vcc
	v_cmp_gt_i32_e64 s[2:3], s18, v5
	v_or_b32_e32 v23, v4, v2
	v_or_b32_e32 v11, v43, v5
	v_cmp_lt_i32_e64 s[4:5], -1, v23
	s_and_b64 s[88:89], s[6:7], s[2:3]
	s_and_b64 s[4:5], s[88:89], s[4:5]
	v_or_b32_e32 v24, v11, v2
	v_or_b32_e32 v15, v58, v5
	s_and_b64 s[6:7], s[4:5], vcc
	v_cmp_lt_i32_e64 s[4:5], -1, v24
	s_and_b64 s[90:91], s[8:9], s[2:3]
	s_and_b64 s[4:5], s[90:91], s[4:5]
	v_or_b32_e32 v25, v15, v2
	v_subrev_u32_e32 v9, s23, v2
	s_and_b64 s[8:9], s[4:5], vcc
	v_cmp_lt_i32_e64 s[4:5], -1, v25
	s_and_b64 s[92:93], s[10:11], s[2:3]
	v_or_b32_e32 v10, v8, v9
	s_and_b64 s[2:3], s[92:93], s[4:5]
	s_and_b64 s[4:5], s[2:3], vcc
	v_cmp_lt_i32_e64 s[2:3], -1, v10
	v_or_b32_e32 v14, v13, v9
	v_cmp_gt_i32_e32 vcc, s17, v9
	s_and_b64 s[2:3], s[76:77], s[2:3]
	s_and_b64 s[10:11], s[2:3], vcc
	v_cmp_lt_i32_e64 s[2:3], -1, v14
	v_or_b32_e32 v18, v17, v9
	s_and_b64 s[2:3], s[78:79], s[2:3]
	s_and_b64 s[60:61], s[2:3], vcc
	v_cmp_lt_i32_e64 s[2:3], -1, v18
	v_or_b32_e32 v19, v6, v9
	;; [unrolled: 4-line block ×7, first 2 shown]
	s_and_b64 s[2:3], s[90:91], s[2:3]
	s_and_b64 s[72:73], s[2:3], vcc
	v_cmp_lt_i32_e64 s[2:3], -1, v24
	v_subrev_u32_e32 v19, s36, v2
	s_and_b64 s[2:3], s[92:93], s[2:3]
	v_or_b32_e32 v8, v8, v19
	s_and_b64 s[74:75], s[2:3], vcc
	v_cmp_lt_i32_e32 vcc, -1, v8
	v_or_b32_e32 v8, v13, v19
	s_and_b64 s[76:77], s[76:77], vcc
	v_cmp_lt_i32_e32 vcc, -1, v8
	;; [unrolled: 3-line block ×7, first 2 shown]
	v_or_b32_e32 v4, v11, v19
	v_mul_lo_u32 v11, v2, s18
	v_add_u32_e32 v2, v3, v11
	v_add_u32_e32 v8, v7, v11
	;; [unrolled: 1-line block ×3, first 2 shown]
	v_mul_lo_u32 v11, v11, s19
	v_mul_lo_u32 v9, v9, s18
	v_add_u32_e32 v14, v37, v11
	v_add_u32_e32 v16, v43, v11
	;; [unrolled: 1-line block ×4, first 2 shown]
	v_mul_lo_u32 v11, v11, s19
	v_add_u32_e32 v20, v37, v11
	v_add_u32_e32 v22, v43, v11
	;; [unrolled: 1-line block ×4, first 2 shown]
	v_mul_lo_u32 v11, v11, s19
	v_mul_lo_u32 v73, v71, s16
	v_readlane_b32 s2, v127, 2
	v_add_u32_e32 v26, v37, v11
	v_add_u32_e32 v28, v43, v11
	;; [unrolled: 1-line block ×3, first 2 shown]
	v_mul_lo_u32 v11, v19, s18
	v_mul_lo_u32 v50, s2, v73
	v_add_u32_e32 v3, v3, v11
	v_readlane_b32 s94, v127, 3
	v_mul_lo_u32 v39, v3, s19
	v_add_u32_e32 v3, v7, v11
	v_ashrrev_i32_e32 v51, 31, v50
	v_readlane_b32 s95, v127, 4
	v_mul_lo_u32 v52, s40, v72
	v_or_b32_e32 v13, v15, v19
	v_add_u32_e32 v9, v5, v9
	v_mul_lo_u32 v45, v3, s19
	v_add_u32_e32 v3, v5, v11
	v_lshl_add_u64 v[50:51], v[50:51], 2, s[94:95]
	v_readlane_b32 s94, v127, 0
	s_and_b64 s[88:89], s[88:89], vcc
	v_cmp_lt_i32_e32 vcc, -1, v4
	v_mul_lo_u32 v6, v2, s19
	v_mul_lo_u32 v12, v8, s19
	;; [unrolled: 1-line block ×4, first 2 shown]
	v_cmp_lt_i32_e64 s[2:3], -1, v13
	v_ashrrev_i32_e32 v53, 31, v52
	v_readlane_b32 s95, v127, 1
	s_and_b64 s[90:91], s[90:91], vcc
	v_add_u32_e32 v2, v37, v6
	v_add_u32_e32 v4, v43, v6
	;; [unrolled: 1-line block ×13, first 2 shown]
	v_cmp_gt_i32_e32 vcc, s17, v19
	v_add_u32_e32 v46, v58, v9
	v_add_u32_e32 v48, v43, v59
	v_lshl_add_u64 v[52:53], v[52:53], 2, s[94:95]
	v_add_u32_e32 v54, v37, v39
	v_add_u32_e32 v56, v43, v45
	s_and_b64 s[2:3], s[92:93], s[2:3]
	v_add_u32_e32 v58, v58, v59
	s_mul_i32 s94, s41, s16
	v_ashrrev_i32_e32 v3, 31, v2
	v_ashrrev_i32_e32 v5, 31, v4
	;; [unrolled: 1-line block ×18, first 2 shown]
	s_and_b64 s[76:77], s[76:77], vcc
	v_ashrrev_i32_e32 v55, 31, v54
	s_and_b64 s[78:79], s[78:79], vcc
	v_ashrrev_i32_e32 v37, 31, v36
	;; [unrolled: 2-line block ×9, first 2 shown]
	s_mov_b64 s[92:93], 0
	v_add_u32_e32 v75, s16, v73
	v_mov_b32_e32 v74, 0
	v_mul_lo_u32 v60, s94, v71
	s_branch .LBB19_7
.LBB19_6:                               ;   in Loop: Header=BB19_7 Depth=2
	s_or_b64 exec, exec, s[94:95]
	s_waitcnt vmcnt(26)
	v_fmac_f32_e32 v74, v76, v61
	s_waitcnt vmcnt(25)
	v_fmac_f32_e32 v74, v77, v79
	;; [unrolled: 2-line block ×25, first 2 shown]
	v_add_u32_e32 v73, 1, v73
	s_waitcnt vmcnt(1)
	v_fmac_f32_e32 v74, v125, v64
	s_mov_b64 s[94:95], 0x6c
	v_cmp_ge_i32_e32 vcc, v73, v75
	s_waitcnt vmcnt(0)
	v_fmac_f32_e32 v74, v65, v126
	v_lshl_add_u64 v[50:51], v[50:51], 0, s[94:95]
	s_or_b64 s[92:93], vcc, s[92:93]
	v_add_u32_e32 v60, s41, v60
	s_andn2_b64 exec, exec, s[92:93]
	s_cbranch_execz .LBB19_2
.LBB19_7:                               ;   Parent Loop BB19_4 Depth=1
                                        ; =>  This Inner Loop Header: Depth=2
	global_load_dword v76, v[50:51], off
	v_ashrrev_i32_e32 v61, 31, v60
	v_lshl_add_u64 v[62:63], v[60:61], 2, v[52:53]
	v_mov_b32_e32 v61, 0
	s_and_saveexec_b64 s[94:95], s[48:49]
	s_cbranch_execz .LBB19_9
; %bb.8:                                ;   in Loop: Header=BB19_7 Depth=2
	v_lshl_add_u64 v[64:65], v[2:3], 2, v[62:63]
	global_load_dword v61, v[64:65], off
.LBB19_9:                               ;   in Loop: Header=BB19_7 Depth=2
	s_or_b64 exec, exec, s[94:95]
	global_load_dword v77, v[50:51], off offset:4
	v_mov_b32_e32 v78, 0
	v_mov_b32_e32 v79, 0
	s_and_saveexec_b64 s[94:95], s[50:51]
	s_cbranch_execz .LBB19_11
; %bb.10:                               ;   in Loop: Header=BB19_7 Depth=2
	v_lshl_add_u64 v[64:65], v[4:5], 2, v[62:63]
	global_load_dword v79, v[64:65], off
.LBB19_11:                              ;   in Loop: Header=BB19_7 Depth=2
	s_or_b64 exec, exec, s[94:95]
	global_load_dword v80, v[50:51], off offset:8
	s_and_saveexec_b64 s[94:95], s[52:53]
	s_cbranch_execz .LBB19_13
; %bb.12:                               ;   in Loop: Header=BB19_7 Depth=2
	v_lshl_add_u64 v[64:65], v[6:7], 2, v[62:63]
	global_load_dword v78, v[64:65], off
.LBB19_13:                              ;   in Loop: Header=BB19_7 Depth=2
	s_or_b64 exec, exec, s[94:95]
	global_load_dword v81, v[50:51], off offset:12
	v_mov_b32_e32 v82, 0
	v_mov_b32_e32 v83, 0
	s_and_saveexec_b64 s[94:95], s[54:55]
	s_cbranch_execz .LBB19_15
; %bb.14:                               ;   in Loop: Header=BB19_7 Depth=2
	v_lshl_add_u64 v[64:65], v[8:9], 2, v[62:63]
	global_load_dword v83, v[64:65], off
.LBB19_15:                              ;   in Loop: Header=BB19_7 Depth=2
	s_or_b64 exec, exec, s[94:95]
	global_load_dword v84, v[50:51], off offset:16
	s_and_saveexec_b64 s[94:95], s[56:57]
	s_cbranch_execz .LBB19_17
; %bb.16:                               ;   in Loop: Header=BB19_7 Depth=2
	v_lshl_add_u64 v[64:65], v[10:11], 2, v[62:63]
	global_load_dword v82, v[64:65], off
.LBB19_17:                              ;   in Loop: Header=BB19_7 Depth=2
	s_or_b64 exec, exec, s[94:95]
	global_load_dword v85, v[50:51], off offset:20
	v_mov_b32_e32 v86, 0
	v_mov_b32_e32 v87, 0
	s_and_saveexec_b64 s[94:95], s[58:59]
	s_cbranch_execz .LBB19_19
; %bb.18:                               ;   in Loop: Header=BB19_7 Depth=2
	v_lshl_add_u64 v[64:65], v[12:13], 2, v[62:63]
	global_load_dword v87, v[64:65], off
.LBB19_19:                              ;   in Loop: Header=BB19_7 Depth=2
	s_or_b64 exec, exec, s[94:95]
	global_load_dword v88, v[50:51], off offset:24
	s_and_saveexec_b64 s[94:95], s[6:7]
	s_cbranch_execz .LBB19_21
; %bb.20:                               ;   in Loop: Header=BB19_7 Depth=2
	v_lshl_add_u64 v[64:65], v[14:15], 2, v[62:63]
	global_load_dword v86, v[64:65], off
.LBB19_21:                              ;   in Loop: Header=BB19_7 Depth=2
	s_or_b64 exec, exec, s[94:95]
	global_load_dword v89, v[50:51], off offset:28
	v_mov_b32_e32 v90, 0
	v_mov_b32_e32 v91, 0
	s_and_saveexec_b64 s[94:95], s[8:9]
	s_cbranch_execz .LBB19_23
; %bb.22:                               ;   in Loop: Header=BB19_7 Depth=2
	v_lshl_add_u64 v[64:65], v[16:17], 2, v[62:63]
	global_load_dword v91, v[64:65], off
.LBB19_23:                              ;   in Loop: Header=BB19_7 Depth=2
	s_or_b64 exec, exec, s[94:95]
	global_load_dword v92, v[50:51], off offset:32
	s_and_saveexec_b64 s[94:95], s[4:5]
	s_cbranch_execz .LBB19_25
; %bb.24:                               ;   in Loop: Header=BB19_7 Depth=2
	v_lshl_add_u64 v[64:65], v[18:19], 2, v[62:63]
	global_load_dword v90, v[64:65], off
.LBB19_25:                              ;   in Loop: Header=BB19_7 Depth=2
	s_or_b64 exec, exec, s[94:95]
	global_load_dword v93, v[50:51], off offset:36
	v_mov_b32_e32 v94, 0
	v_mov_b32_e32 v95, 0
	s_and_saveexec_b64 s[94:95], s[10:11]
	s_cbranch_execz .LBB19_27
; %bb.26:                               ;   in Loop: Header=BB19_7 Depth=2
	v_lshl_add_u64 v[64:65], v[20:21], 2, v[62:63]
	global_load_dword v95, v[64:65], off
.LBB19_27:                              ;   in Loop: Header=BB19_7 Depth=2
	s_or_b64 exec, exec, s[94:95]
	global_load_dword v96, v[50:51], off offset:40
	s_and_saveexec_b64 s[94:95], s[60:61]
	s_cbranch_execz .LBB19_29
; %bb.28:                               ;   in Loop: Header=BB19_7 Depth=2
	v_lshl_add_u64 v[64:65], v[22:23], 2, v[62:63]
	global_load_dword v94, v[64:65], off
.LBB19_29:                              ;   in Loop: Header=BB19_7 Depth=2
	s_or_b64 exec, exec, s[94:95]
	global_load_dword v97, v[50:51], off offset:44
	v_mov_b32_e32 v98, 0
	v_mov_b32_e32 v99, 0
	s_and_saveexec_b64 s[94:95], s[62:63]
	s_cbranch_execz .LBB19_31
; %bb.30:                               ;   in Loop: Header=BB19_7 Depth=2
	v_lshl_add_u64 v[64:65], v[24:25], 2, v[62:63]
	global_load_dword v99, v[64:65], off
.LBB19_31:                              ;   in Loop: Header=BB19_7 Depth=2
	s_or_b64 exec, exec, s[94:95]
	global_load_dword v100, v[50:51], off offset:48
	s_and_saveexec_b64 s[94:95], s[64:65]
	s_cbranch_execz .LBB19_33
; %bb.32:                               ;   in Loop: Header=BB19_7 Depth=2
	v_lshl_add_u64 v[64:65], v[26:27], 2, v[62:63]
	global_load_dword v98, v[64:65], off
.LBB19_33:                              ;   in Loop: Header=BB19_7 Depth=2
	s_or_b64 exec, exec, s[94:95]
	global_load_dword v101, v[50:51], off offset:52
	v_mov_b32_e32 v102, 0
	v_mov_b32_e32 v103, 0
	s_and_saveexec_b64 s[94:95], s[66:67]
	s_cbranch_execz .LBB19_35
; %bb.34:                               ;   in Loop: Header=BB19_7 Depth=2
	v_lshl_add_u64 v[64:65], v[28:29], 2, v[62:63]
	global_load_dword v103, v[64:65], off
.LBB19_35:                              ;   in Loop: Header=BB19_7 Depth=2
	s_or_b64 exec, exec, s[94:95]
	global_load_dword v104, v[50:51], off offset:56
	s_and_saveexec_b64 s[94:95], s[68:69]
	s_cbranch_execz .LBB19_37
; %bb.36:                               ;   in Loop: Header=BB19_7 Depth=2
	v_lshl_add_u64 v[64:65], v[30:31], 2, v[62:63]
	global_load_dword v102, v[64:65], off
.LBB19_37:                              ;   in Loop: Header=BB19_7 Depth=2
	s_or_b64 exec, exec, s[94:95]
	global_load_dword v105, v[50:51], off offset:60
	v_mov_b32_e32 v106, 0
	v_mov_b32_e32 v107, 0
	s_and_saveexec_b64 s[94:95], s[70:71]
	s_cbranch_execz .LBB19_39
; %bb.38:                               ;   in Loop: Header=BB19_7 Depth=2
	v_lshl_add_u64 v[64:65], v[32:33], 2, v[62:63]
	global_load_dword v107, v[64:65], off
.LBB19_39:                              ;   in Loop: Header=BB19_7 Depth=2
	s_or_b64 exec, exec, s[94:95]
	global_load_dword v108, v[50:51], off offset:64
	s_and_saveexec_b64 s[94:95], s[72:73]
	s_cbranch_execz .LBB19_41
; %bb.40:                               ;   in Loop: Header=BB19_7 Depth=2
	v_lshl_add_u64 v[64:65], v[34:35], 2, v[62:63]
	global_load_dword v106, v[64:65], off
.LBB19_41:                              ;   in Loop: Header=BB19_7 Depth=2
	s_or_b64 exec, exec, s[94:95]
	global_load_dword v109, v[50:51], off offset:68
	v_mov_b32_e32 v110, 0
	v_mov_b32_e32 v111, 0
	s_and_saveexec_b64 s[94:95], s[74:75]
	s_cbranch_execz .LBB19_43
; %bb.42:                               ;   in Loop: Header=BB19_7 Depth=2
	v_lshl_add_u64 v[64:65], v[46:47], 2, v[62:63]
	global_load_dword v111, v[64:65], off
.LBB19_43:                              ;   in Loop: Header=BB19_7 Depth=2
	s_or_b64 exec, exec, s[94:95]
	global_load_dword v112, v[50:51], off offset:72
	s_and_saveexec_b64 s[94:95], s[76:77]
	s_cbranch_execz .LBB19_45
; %bb.44:                               ;   in Loop: Header=BB19_7 Depth=2
	v_lshl_add_u64 v[64:65], v[54:55], 2, v[62:63]
	global_load_dword v110, v[64:65], off
.LBB19_45:                              ;   in Loop: Header=BB19_7 Depth=2
	s_or_b64 exec, exec, s[94:95]
	global_load_dword v113, v[50:51], off offset:76
	v_mov_b32_e32 v114, 0
	v_mov_b32_e32 v115, 0
	s_and_saveexec_b64 s[94:95], s[78:79]
	s_cbranch_execz .LBB19_47
; %bb.46:                               ;   in Loop: Header=BB19_7 Depth=2
	v_lshl_add_u64 v[64:65], v[36:37], 2, v[62:63]
	global_load_dword v115, v[64:65], off
.LBB19_47:                              ;   in Loop: Header=BB19_7 Depth=2
	s_or_b64 exec, exec, s[94:95]
	global_load_dword v116, v[50:51], off offset:80
	s_and_saveexec_b64 s[94:95], s[80:81]
	s_cbranch_execz .LBB19_49
; %bb.48:                               ;   in Loop: Header=BB19_7 Depth=2
	v_lshl_add_u64 v[64:65], v[38:39], 2, v[62:63]
	global_load_dword v114, v[64:65], off
.LBB19_49:                              ;   in Loop: Header=BB19_7 Depth=2
	s_or_b64 exec, exec, s[94:95]
	global_load_dword v117, v[50:51], off offset:84
	v_mov_b32_e32 v118, 0
	v_mov_b32_e32 v119, 0
	s_and_saveexec_b64 s[94:95], s[82:83]
	s_cbranch_execz .LBB19_51
; %bb.50:                               ;   in Loop: Header=BB19_7 Depth=2
	v_lshl_add_u64 v[64:65], v[40:41], 2, v[62:63]
	global_load_dword v119, v[64:65], off
.LBB19_51:                              ;   in Loop: Header=BB19_7 Depth=2
	s_or_b64 exec, exec, s[94:95]
	global_load_dword v120, v[50:51], off offset:88
	s_and_saveexec_b64 s[94:95], s[84:85]
	s_cbranch_execz .LBB19_53
; %bb.52:                               ;   in Loop: Header=BB19_7 Depth=2
	v_lshl_add_u64 v[64:65], v[56:57], 2, v[62:63]
	global_load_dword v118, v[64:65], off
.LBB19_53:                              ;   in Loop: Header=BB19_7 Depth=2
	s_or_b64 exec, exec, s[94:95]
	global_load_dword v121, v[50:51], off offset:92
	v_mov_b32_e32 v122, 0
	v_mov_b32_e32 v123, 0
	s_and_saveexec_b64 s[94:95], s[86:87]
	s_cbranch_execz .LBB19_55
; %bb.54:                               ;   in Loop: Header=BB19_7 Depth=2
	v_lshl_add_u64 v[64:65], v[42:43], 2, v[62:63]
	global_load_dword v123, v[64:65], off
.LBB19_55:                              ;   in Loop: Header=BB19_7 Depth=2
	s_or_b64 exec, exec, s[94:95]
	global_load_dword v124, v[50:51], off offset:96
	s_and_saveexec_b64 s[94:95], s[88:89]
	s_cbranch_execz .LBB19_57
; %bb.56:                               ;   in Loop: Header=BB19_7 Depth=2
	v_lshl_add_u64 v[64:65], v[44:45], 2, v[62:63]
	global_load_dword v122, v[64:65], off
.LBB19_57:                              ;   in Loop: Header=BB19_7 Depth=2
	s_or_b64 exec, exec, s[94:95]
	global_load_dword v125, v[50:51], off offset:100
	v_mov_b32_e32 v126, 0
	v_mov_b32_e32 v64, 0
	s_and_saveexec_b64 s[94:95], s[90:91]
	s_cbranch_execz .LBB19_59
; %bb.58:                               ;   in Loop: Header=BB19_7 Depth=2
	v_lshl_add_u64 v[64:65], v[48:49], 2, v[62:63]
	global_load_dword v64, v[64:65], off
.LBB19_59:                              ;   in Loop: Header=BB19_7 Depth=2
	s_or_b64 exec, exec, s[94:95]
	global_load_dword v65, v[50:51], off offset:104
	s_and_saveexec_b64 s[94:95], s[2:3]
	s_cbranch_execz .LBB19_6
; %bb.60:                               ;   in Loop: Header=BB19_7 Depth=2
	v_lshl_add_u64 v[62:63], v[58:59], 2, v[62:63]
	global_load_dword v126, v[62:63], off
	s_branch .LBB19_6
.LBB19_61:                              ;   in Loop: Header=BB19_4 Depth=1
	v_mov_b32_e32 v74, 0
	s_branch .LBB19_3
.LBB19_62:
	s_endpgm
	.section	.rodata,"a",@progbits
	.p2align	6, 0x0
	.amdhsa_kernel _ZN2at6native12_GLOBAL__N_143conv_depthwise3d_cuda_backward_input_kernelIffLi3ELi3ELi3ELin1ELin1ELin1ELi1ELi1ELi1EEEvN5torch10headeronly6detail27GenericPackedTensorAccessorINS5_14TensorAccessorIN3c108ArrayRefIlEEKT_Lm4ENS4_16DefaultPtrTraitsEiEENS_6detail16IndexBoundsCheckILm5EiEESC_Lm5ESD_iEENS6_INS7_ISA_SB_Lm4ESD_iEESH_SB_Lm5ESD_iEESI_iiiiiiiii
		.amdhsa_group_segment_fixed_size 0
		.amdhsa_private_segment_fixed_size 12
		.amdhsa_kernarg_size 440
		.amdhsa_user_sgpr_count 2
		.amdhsa_user_sgpr_dispatch_ptr 0
		.amdhsa_user_sgpr_queue_ptr 0
		.amdhsa_user_sgpr_kernarg_segment_ptr 1
		.amdhsa_user_sgpr_dispatch_id 0
		.amdhsa_user_sgpr_kernarg_preload_length 0
		.amdhsa_user_sgpr_kernarg_preload_offset 0
		.amdhsa_user_sgpr_private_segment_size 0
		.amdhsa_uses_dynamic_stack 0
		.amdhsa_enable_private_segment 1
		.amdhsa_system_sgpr_workgroup_id_x 1
		.amdhsa_system_sgpr_workgroup_id_y 0
		.amdhsa_system_sgpr_workgroup_id_z 0
		.amdhsa_system_sgpr_workgroup_info 0
		.amdhsa_system_vgpr_workitem_id 0
		.amdhsa_next_free_vgpr 128
		.amdhsa_next_free_sgpr 100
		.amdhsa_accum_offset 128
		.amdhsa_reserve_vcc 1
		.amdhsa_float_round_mode_32 0
		.amdhsa_float_round_mode_16_64 0
		.amdhsa_float_denorm_mode_32 3
		.amdhsa_float_denorm_mode_16_64 3
		.amdhsa_dx10_clamp 1
		.amdhsa_ieee_mode 1
		.amdhsa_fp16_overflow 0
		.amdhsa_tg_split 0
		.amdhsa_exception_fp_ieee_invalid_op 0
		.amdhsa_exception_fp_denorm_src 0
		.amdhsa_exception_fp_ieee_div_zero 0
		.amdhsa_exception_fp_ieee_overflow 0
		.amdhsa_exception_fp_ieee_underflow 0
		.amdhsa_exception_fp_ieee_inexact 0
		.amdhsa_exception_int_div_zero 0
	.end_amdhsa_kernel
	.section	.text._ZN2at6native12_GLOBAL__N_143conv_depthwise3d_cuda_backward_input_kernelIffLi3ELi3ELi3ELin1ELin1ELin1ELi1ELi1ELi1EEEvN5torch10headeronly6detail27GenericPackedTensorAccessorINS5_14TensorAccessorIN3c108ArrayRefIlEEKT_Lm4ENS4_16DefaultPtrTraitsEiEENS_6detail16IndexBoundsCheckILm5EiEESC_Lm5ESD_iEENS6_INS7_ISA_SB_Lm4ESD_iEESH_SB_Lm5ESD_iEESI_iiiiiiiii,"axG",@progbits,_ZN2at6native12_GLOBAL__N_143conv_depthwise3d_cuda_backward_input_kernelIffLi3ELi3ELi3ELin1ELin1ELin1ELi1ELi1ELi1EEEvN5torch10headeronly6detail27GenericPackedTensorAccessorINS5_14TensorAccessorIN3c108ArrayRefIlEEKT_Lm4ENS4_16DefaultPtrTraitsEiEENS_6detail16IndexBoundsCheckILm5EiEESC_Lm5ESD_iEENS6_INS7_ISA_SB_Lm4ESD_iEESH_SB_Lm5ESD_iEESI_iiiiiiiii,comdat
.Lfunc_end19:
	.size	_ZN2at6native12_GLOBAL__N_143conv_depthwise3d_cuda_backward_input_kernelIffLi3ELi3ELi3ELin1ELin1ELin1ELi1ELi1ELi1EEEvN5torch10headeronly6detail27GenericPackedTensorAccessorINS5_14TensorAccessorIN3c108ArrayRefIlEEKT_Lm4ENS4_16DefaultPtrTraitsEiEENS_6detail16IndexBoundsCheckILm5EiEESC_Lm5ESD_iEENS6_INS7_ISA_SB_Lm4ESD_iEESH_SB_Lm5ESD_iEESI_iiiiiiiii, .Lfunc_end19-_ZN2at6native12_GLOBAL__N_143conv_depthwise3d_cuda_backward_input_kernelIffLi3ELi3ELi3ELin1ELin1ELin1ELi1ELi1ELi1EEEvN5torch10headeronly6detail27GenericPackedTensorAccessorINS5_14TensorAccessorIN3c108ArrayRefIlEEKT_Lm4ENS4_16DefaultPtrTraitsEiEENS_6detail16IndexBoundsCheckILm5EiEESC_Lm5ESD_iEENS6_INS7_ISA_SB_Lm4ESD_iEESH_SB_Lm5ESD_iEESI_iiiiiiiii
                                        ; -- End function
	.set _ZN2at6native12_GLOBAL__N_143conv_depthwise3d_cuda_backward_input_kernelIffLi3ELi3ELi3ELin1ELin1ELin1ELi1ELi1ELi1EEEvN5torch10headeronly6detail27GenericPackedTensorAccessorINS5_14TensorAccessorIN3c108ArrayRefIlEEKT_Lm4ENS4_16DefaultPtrTraitsEiEENS_6detail16IndexBoundsCheckILm5EiEESC_Lm5ESD_iEENS6_INS7_ISA_SB_Lm4ESD_iEESH_SB_Lm5ESD_iEESI_iiiiiiiii.num_vgpr, 128
	.set _ZN2at6native12_GLOBAL__N_143conv_depthwise3d_cuda_backward_input_kernelIffLi3ELi3ELi3ELin1ELin1ELin1ELi1ELi1ELi1EEEvN5torch10headeronly6detail27GenericPackedTensorAccessorINS5_14TensorAccessorIN3c108ArrayRefIlEEKT_Lm4ENS4_16DefaultPtrTraitsEiEENS_6detail16IndexBoundsCheckILm5EiEESC_Lm5ESD_iEENS6_INS7_ISA_SB_Lm4ESD_iEESH_SB_Lm5ESD_iEESI_iiiiiiiii.num_agpr, 0
	.set _ZN2at6native12_GLOBAL__N_143conv_depthwise3d_cuda_backward_input_kernelIffLi3ELi3ELi3ELin1ELin1ELin1ELi1ELi1ELi1EEEvN5torch10headeronly6detail27GenericPackedTensorAccessorINS5_14TensorAccessorIN3c108ArrayRefIlEEKT_Lm4ENS4_16DefaultPtrTraitsEiEENS_6detail16IndexBoundsCheckILm5EiEESC_Lm5ESD_iEENS6_INS7_ISA_SB_Lm4ESD_iEESH_SB_Lm5ESD_iEESI_iiiiiiiii.numbered_sgpr, 100
	.set _ZN2at6native12_GLOBAL__N_143conv_depthwise3d_cuda_backward_input_kernelIffLi3ELi3ELi3ELin1ELin1ELin1ELi1ELi1ELi1EEEvN5torch10headeronly6detail27GenericPackedTensorAccessorINS5_14TensorAccessorIN3c108ArrayRefIlEEKT_Lm4ENS4_16DefaultPtrTraitsEiEENS_6detail16IndexBoundsCheckILm5EiEESC_Lm5ESD_iEENS6_INS7_ISA_SB_Lm4ESD_iEESH_SB_Lm5ESD_iEESI_iiiiiiiii.num_named_barrier, 0
	.set _ZN2at6native12_GLOBAL__N_143conv_depthwise3d_cuda_backward_input_kernelIffLi3ELi3ELi3ELin1ELin1ELin1ELi1ELi1ELi1EEEvN5torch10headeronly6detail27GenericPackedTensorAccessorINS5_14TensorAccessorIN3c108ArrayRefIlEEKT_Lm4ENS4_16DefaultPtrTraitsEiEENS_6detail16IndexBoundsCheckILm5EiEESC_Lm5ESD_iEENS6_INS7_ISA_SB_Lm4ESD_iEESH_SB_Lm5ESD_iEESI_iiiiiiiii.private_seg_size, 12
	.set _ZN2at6native12_GLOBAL__N_143conv_depthwise3d_cuda_backward_input_kernelIffLi3ELi3ELi3ELin1ELin1ELin1ELi1ELi1ELi1EEEvN5torch10headeronly6detail27GenericPackedTensorAccessorINS5_14TensorAccessorIN3c108ArrayRefIlEEKT_Lm4ENS4_16DefaultPtrTraitsEiEENS_6detail16IndexBoundsCheckILm5EiEESC_Lm5ESD_iEENS6_INS7_ISA_SB_Lm4ESD_iEESH_SB_Lm5ESD_iEESI_iiiiiiiii.uses_vcc, 1
	.set _ZN2at6native12_GLOBAL__N_143conv_depthwise3d_cuda_backward_input_kernelIffLi3ELi3ELi3ELin1ELin1ELin1ELi1ELi1ELi1EEEvN5torch10headeronly6detail27GenericPackedTensorAccessorINS5_14TensorAccessorIN3c108ArrayRefIlEEKT_Lm4ENS4_16DefaultPtrTraitsEiEENS_6detail16IndexBoundsCheckILm5EiEESC_Lm5ESD_iEENS6_INS7_ISA_SB_Lm4ESD_iEESH_SB_Lm5ESD_iEESI_iiiiiiiii.uses_flat_scratch, 0
	.set _ZN2at6native12_GLOBAL__N_143conv_depthwise3d_cuda_backward_input_kernelIffLi3ELi3ELi3ELin1ELin1ELin1ELi1ELi1ELi1EEEvN5torch10headeronly6detail27GenericPackedTensorAccessorINS5_14TensorAccessorIN3c108ArrayRefIlEEKT_Lm4ENS4_16DefaultPtrTraitsEiEENS_6detail16IndexBoundsCheckILm5EiEESC_Lm5ESD_iEENS6_INS7_ISA_SB_Lm4ESD_iEESH_SB_Lm5ESD_iEESI_iiiiiiiii.has_dyn_sized_stack, 0
	.set _ZN2at6native12_GLOBAL__N_143conv_depthwise3d_cuda_backward_input_kernelIffLi3ELi3ELi3ELin1ELin1ELin1ELi1ELi1ELi1EEEvN5torch10headeronly6detail27GenericPackedTensorAccessorINS5_14TensorAccessorIN3c108ArrayRefIlEEKT_Lm4ENS4_16DefaultPtrTraitsEiEENS_6detail16IndexBoundsCheckILm5EiEESC_Lm5ESD_iEENS6_INS7_ISA_SB_Lm4ESD_iEESH_SB_Lm5ESD_iEESI_iiiiiiiii.has_recursion, 0
	.set _ZN2at6native12_GLOBAL__N_143conv_depthwise3d_cuda_backward_input_kernelIffLi3ELi3ELi3ELin1ELin1ELin1ELi1ELi1ELi1EEEvN5torch10headeronly6detail27GenericPackedTensorAccessorINS5_14TensorAccessorIN3c108ArrayRefIlEEKT_Lm4ENS4_16DefaultPtrTraitsEiEENS_6detail16IndexBoundsCheckILm5EiEESC_Lm5ESD_iEENS6_INS7_ISA_SB_Lm4ESD_iEESH_SB_Lm5ESD_iEESI_iiiiiiiii.has_indirect_call, 0
	.section	.AMDGPU.csdata,"",@progbits
; Kernel info:
; codeLenInByte = 3636
; TotalNumSgprs: 106
; NumVgprs: 128
; NumAgprs: 0
; TotalNumVgprs: 128
; ScratchSize: 12
; MemoryBound: 0
; FloatMode: 240
; IeeeMode: 1
; LDSByteSize: 0 bytes/workgroup (compile time only)
; SGPRBlocks: 13
; VGPRBlocks: 15
; NumSGPRsForWavesPerEU: 106
; NumVGPRsForWavesPerEU: 128
; AccumOffset: 128
; Occupancy: 4
; WaveLimiterHint : 0
; COMPUTE_PGM_RSRC2:SCRATCH_EN: 1
; COMPUTE_PGM_RSRC2:USER_SGPR: 2
; COMPUTE_PGM_RSRC2:TRAP_HANDLER: 0
; COMPUTE_PGM_RSRC2:TGID_X_EN: 1
; COMPUTE_PGM_RSRC2:TGID_Y_EN: 0
; COMPUTE_PGM_RSRC2:TGID_Z_EN: 0
; COMPUTE_PGM_RSRC2:TIDIG_COMP_CNT: 0
; COMPUTE_PGM_RSRC3_GFX90A:ACCUM_OFFSET: 31
; COMPUTE_PGM_RSRC3_GFX90A:TG_SPLIT: 0
	.section	.text._ZN2at6native12_GLOBAL__N_143conv_depthwise3d_cuda_backward_input_kernelIffLi3ELi3ELi3ELin1ELin1ELin1ELin1ELin1ELin1EEEvN5torch10headeronly6detail27GenericPackedTensorAccessorINS5_14TensorAccessorIN3c108ArrayRefIlEEKT_Lm4ENS4_16DefaultPtrTraitsEiEENS_6detail16IndexBoundsCheckILm5EiEESC_Lm5ESD_iEENS6_INS7_ISA_SB_Lm4ESD_iEESH_SB_Lm5ESD_iEESI_iiiiiiiii,"axG",@progbits,_ZN2at6native12_GLOBAL__N_143conv_depthwise3d_cuda_backward_input_kernelIffLi3ELi3ELi3ELin1ELin1ELin1ELin1ELin1ELin1EEEvN5torch10headeronly6detail27GenericPackedTensorAccessorINS5_14TensorAccessorIN3c108ArrayRefIlEEKT_Lm4ENS4_16DefaultPtrTraitsEiEENS_6detail16IndexBoundsCheckILm5EiEESC_Lm5ESD_iEENS6_INS7_ISA_SB_Lm4ESD_iEESH_SB_Lm5ESD_iEESI_iiiiiiiii,comdat
	.globl	_ZN2at6native12_GLOBAL__N_143conv_depthwise3d_cuda_backward_input_kernelIffLi3ELi3ELi3ELin1ELin1ELin1ELin1ELin1ELin1EEEvN5torch10headeronly6detail27GenericPackedTensorAccessorINS5_14TensorAccessorIN3c108ArrayRefIlEEKT_Lm4ENS4_16DefaultPtrTraitsEiEENS_6detail16IndexBoundsCheckILm5EiEESC_Lm5ESD_iEENS6_INS7_ISA_SB_Lm4ESD_iEESH_SB_Lm5ESD_iEESI_iiiiiiiii ; -- Begin function _ZN2at6native12_GLOBAL__N_143conv_depthwise3d_cuda_backward_input_kernelIffLi3ELi3ELi3ELin1ELin1ELin1ELin1ELin1ELin1EEEvN5torch10headeronly6detail27GenericPackedTensorAccessorINS5_14TensorAccessorIN3c108ArrayRefIlEEKT_Lm4ENS4_16DefaultPtrTraitsEiEENS_6detail16IndexBoundsCheckILm5EiEESC_Lm5ESD_iEENS6_INS7_ISA_SB_Lm4ESD_iEESH_SB_Lm5ESD_iEESI_iiiiiiiii
	.p2align	8
	.type	_ZN2at6native12_GLOBAL__N_143conv_depthwise3d_cuda_backward_input_kernelIffLi3ELi3ELi3ELin1ELin1ELin1ELin1ELin1ELin1EEEvN5torch10headeronly6detail27GenericPackedTensorAccessorINS5_14TensorAccessorIN3c108ArrayRefIlEEKT_Lm4ENS4_16DefaultPtrTraitsEiEENS_6detail16IndexBoundsCheckILm5EiEESC_Lm5ESD_iEENS6_INS7_ISA_SB_Lm4ESD_iEESH_SB_Lm5ESD_iEESI_iiiiiiiii,@function
_ZN2at6native12_GLOBAL__N_143conv_depthwise3d_cuda_backward_input_kernelIffLi3ELi3ELi3ELin1ELin1ELin1ELin1ELin1ELin1EEEvN5torch10headeronly6detail27GenericPackedTensorAccessorINS5_14TensorAccessorIN3c108ArrayRefIlEEKT_Lm4ENS4_16DefaultPtrTraitsEiEENS_6detail16IndexBoundsCheckILm5EiEESC_Lm5ESD_iEENS6_INS7_ISA_SB_Lm4ESD_iEESH_SB_Lm5ESD_iEESI_iiiiiiiii: ; @_ZN2at6native12_GLOBAL__N_143conv_depthwise3d_cuda_backward_input_kernelIffLi3ELi3ELi3ELin1ELin1ELin1ELin1ELin1ELin1EEEvN5torch10headeronly6detail27GenericPackedTensorAccessorINS5_14TensorAccessorIN3c108ArrayRefIlEEKT_Lm4ENS4_16DefaultPtrTraitsEiEENS_6detail16IndexBoundsCheckILm5EiEESC_Lm5ESD_iEENS6_INS7_ISA_SB_Lm4ESD_iEESH_SB_Lm5ESD_iEESI_iiiiiiiii
; %bb.0:
	s_load_dwordx4 s[8:11], s[0:1], 0x38
	s_load_dwordx2 s[16:17], s[0:1], 0x48
	s_load_dword s4, s[0:1], 0xc4
                                        ; implicit-def: $vgpr126 : SGPR spill to VGPR lane
	v_mov_b32_e32 v3, s2
	v_mov_b32_e32 v1, 0
	s_waitcnt lgkmcnt(0)
	s_abs_i32 s3, s9
	v_cvt_f32_u32_e32 v2, s3
	v_writelane_b32 v126, s3, 0
	s_mov_b64 s[6:7], s[10:11]
	s_mov_b32 s5, s9
	v_rcp_iflag_f32_e32 v2, v2
	v_writelane_b32 v126, s4, 1
	s_mul_i32 s8, s17, s8
	s_add_u32 s2, s0, 0xb8
	v_mul_f32_e32 v2, 0x4f7ffffe, v2
	v_writelane_b32 v126, s5, 2
	v_cvt_u32_f32_e32 v2, v2
	v_writelane_b32 v126, s6, 3
	v_writelane_b32 v126, s7, 4
	s_addc_u32 s3, s1, 0
	s_and_b32 s4, s4, 0xffff
	s_ashr_i32 s9, s8, 31
	v_mad_u64_u32 v[0:1], s[6:7], s4, v3, v[0:1]
	v_writelane_b32 v126, s8, 5
	v_readfirstlane_b32 s5, v2
	s_nop 0
	v_writelane_b32 v126, s9, 6
	v_cmp_gt_i64_e32 vcc, s[8:9], v[0:1]
	s_and_saveexec_b64 s[6:7], vcc
	s_cbranch_execz .LBB20_63
; %bb.1:
	s_load_dwordx2 s[6:7], s[0:1], 0x0
	s_load_dwordx4 s[28:31], s[0:1], 0x50
	s_load_dwordx4 s[8:11], s[0:1], 0xc
	;; [unrolled: 1-line block ×3, first 2 shown]
	s_load_dwordx8 s[20:27], s[0:1], 0x90
	s_load_dword s18, s[0:1], 0xb0
                                        ; kill: killed $sgpr2 killed $sgpr3
                                        ; kill: killed $sgpr0 killed $sgpr1
	s_waitcnt lgkmcnt(0)
	v_writelane_b32 v126, s6, 7
	s_ashr_i32 s12, s13, 31
	s_nop 0
	v_writelane_b32 v126, s7, 8
	s_ashr_i32 s6, s8, 31
	v_writelane_b32 v126, s8, 9
	s_abs_i32 s7, s8
	s_xor_b32 s6, s6, s12
	v_writelane_b32 v126, s9, 10
	v_writelane_b32 v126, s10, 11
	;; [unrolled: 1-line block ×3, first 2 shown]
	s_mov_b32 s13, 0
	v_readlane_b32 s11, v126, 0
	s_sub_i32 s8, 0, s11
	s_mul_i32 s9, s8, s5
	s_mul_hi_u32 s9, s5, s9
	s_add_i32 s5, s5, s9
	s_mul_hi_u32 s5, s7, s5
	s_mul_i32 s9, s5, s11
	s_sub_i32 s7, s7, s9
	s_add_i32 s9, s5, 1
	s_sub_i32 s10, s7, s11
	s_cmp_ge_u32 s7, s11
	s_cselect_b32 s5, s9, s5
	s_cselect_b32 s7, s10, s7
	s_add_i32 s9, s5, 1
	s_cmp_ge_u32 s7, s11
	s_cselect_b32 s5, s9, s5
	s_xor_b32 s5, s5, s6
	s_sub_i32 s6, s5, s6
	s_load_dword s5, s[2:3], 0x0
	s_load_dword s7, s[0:1], 0x7c
	s_load_dwordx2 s[10:11], s[0:1], 0x1c
	v_writelane_b32 v126, s12, 13
	s_cmp_gt_i32 s6, 0
	s_cselect_b64 s[2:3], -1, 0
	s_waitcnt lgkmcnt(0)
	v_writelane_b32 v126, s7, 14
	v_writelane_b32 v126, s10, 15
	s_mul_i32 s12, s5, s4
	s_abs_i32 s33, s22
	v_writelane_b32 v126, s11, 16
	s_load_dwordx2 s[10:11], s[0:1], 0x30
	s_mov_b64 s[4:5], 0
	s_waitcnt lgkmcnt(0)
	v_writelane_b32 v126, s10, 17
	s_nop 1
	v_writelane_b32 v126, s11, 18
	v_writelane_b32 v126, s6, 19
	s_load_dwordx2 s[6:7], s[0:1], 0x60
	v_writelane_b32 v126, s2, 20
	s_lshl_b32 s0, s18, 1
	s_abs_i32 s1, s15
	v_writelane_b32 v126, s3, 21
	s_abs_i32 s2, s16
	v_cvt_f32_u32_e32 v3, s2
	s_waitcnt lgkmcnt(0)
	v_writelane_b32 v126, s6, 22
	v_cvt_f32_u32_e32 v4, s1
	v_rcp_iflag_f32_e32 v3, v3
	v_writelane_b32 v126, s7, 23
	v_writelane_b32 v126, s28, 24
	v_rcp_iflag_f32_e32 v4, v4
	v_mul_f32_e32 v3, 0x4f7ffffe, v3
	v_writelane_b32 v126, s29, 25
	v_writelane_b32 v126, s30, 26
	;; [unrolled: 1-line block ×4, first 2 shown]
	v_cvt_u32_f32_e32 v3, v3
	v_mul_f32_e32 v4, 0x4f7ffffe, v4
	v_writelane_b32 v126, s13, 29
	v_writelane_b32 v126, s18, 30
	;; [unrolled: 1-line block ×3, first 2 shown]
	s_lshl_b32 s0, s27, 1
	v_writelane_b32 v126, s0, 32
	s_lshl_b32 s0, s26, 1
	v_writelane_b32 v126, s0, 33
	s_ashr_i32 s0, s16, 31
	v_writelane_b32 v126, s0, 34
	s_sub_i32 s0, 0, s2
	v_mul_lo_u32 v5, s0, v3
	v_mul_hi_u32 v5, v3, v5
	v_writelane_b32 v126, s2, 35
	v_add_u32_e32 v3, v3, v5
	s_abs_i32 s2, s14
	scratch_store_dword off, v3, off        ; 4-byte Folded Spill
	v_cvt_f32_u32_e32 v3, s2
	v_cvt_u32_f32_e32 v4, v4
	s_ashr_i32 s0, s15, 31
	v_writelane_b32 v126, s0, 36
	v_rcp_iflag_f32_e32 v3, v3
	s_sub_i32 s0, 0, s1
	v_mul_lo_u32 v5, s0, v4
	v_writelane_b32 v126, s1, 37
	v_mul_f32_e32 v3, 0x4f7ffffe, v3
	v_cvt_u32_f32_e32 v3, v3
	v_mul_hi_u32 v5, v4, v5
	s_ashr_i32 s0, s14, 31
	v_add_u32_e32 v4, v4, v5
	v_writelane_b32 v126, s0, 38
	s_sub_i32 s0, 0, s2
	scratch_store_dword off, v4, off offset:4 ; 4-byte Folded Spill
	v_mul_lo_u32 v4, s0, v3
	s_abs_i32 s0, s20
	v_cvt_f32_u32_e32 v5, s0
	v_mul_hi_u32 v4, v3, v4
	v_add_u32_e32 v3, v3, v4
	scratch_store_dword off, v3, off offset:8 ; 4-byte Folded Spill
	v_rcp_iflag_f32_e32 v4, v5
	v_mul_lo_u32 v3, s8, v2
	v_mul_hi_u32 v3, v2, v3
	v_add_u32_e32 v2, v2, v3
	scratch_store_dword off, v2, off offset:12 ; 4-byte Folded Spill
	v_mul_f32_e32 v2, 0x4f7ffffe, v4
	v_cvt_u32_f32_e32 v2, v2
	v_writelane_b32 v126, s2, 39
	s_ashr_i32 s1, s20, 31
	v_writelane_b32 v126, s1, 40
	s_abs_i32 s1, s21
	v_writelane_b32 v126, s0, 41
	s_sub_i32 s0, 0, s0
	v_cvt_f32_u32_e32 v3, s1
	v_mul_lo_u32 v4, s0, v2
	v_mul_hi_u32 v4, v2, v4
	v_add_u32_e32 v2, v2, v4
	scratch_store_dword off, v2, off offset:16 ; 4-byte Folded Spill
	v_cvt_f32_u32_e32 v2, s33
	v_rcp_iflag_f32_e32 v3, v3
	s_ashr_i32 s0, s21, 31
	v_writelane_b32 v126, s0, 42
	v_writelane_b32 v126, s1, 43
	v_rcp_iflag_f32_e32 v2, v2
	v_writelane_b32 v126, s20, 44
	v_mul_f32_e32 v3, 0x4f7ffffe, v3
	v_cvt_u32_f32_e32 v3, v3
	v_writelane_b32 v126, s21, 45
	v_writelane_b32 v126, s22, 46
	;; [unrolled: 1-line block ×3, first 2 shown]
	v_mul_f32_e32 v2, 0x4f7ffffe, v2
	v_writelane_b32 v126, s24, 48
	s_sub_i32 s0, 0, s1
	v_cvt_u32_f32_e32 v2, v2
	v_writelane_b32 v126, s25, 49
	v_mul_lo_u32 v4, s0, v3
	v_writelane_b32 v126, s26, 50
	v_mul_hi_u32 v4, v3, v4
	v_writelane_b32 v126, s27, 51
	s_ashr_i32 s0, s22, 31
	v_add_u32_e32 v3, v3, v4
	v_writelane_b32 v126, s0, 52
	s_sub_i32 s0, 0, s33
	scratch_store_dword off, v3, off offset:20 ; 4-byte Folded Spill
	v_mul_lo_u32 v3, s0, v2
	v_mul_hi_u32 v3, v2, v3
	v_writelane_b32 v126, s16, 53
	v_add_u32_e32 v70, v2, v3
	s_nop 0
	v_writelane_b32 v126, s17, 54
.LBB20_2:                               ; =>This Loop Header: Depth=1
                                        ;     Child Loop BB20_5 Depth 2
	scratch_load_dword v4, off, off         ; 4-byte Folded Reload
	v_writelane_b32 v126, s4, 55
	v_sub_u32_e32 v3, 0, v0
	v_ashrrev_i32_e32 v2, 31, v0
	v_writelane_b32 v126, s5, 56
	v_max_i32_e32 v3, v0, v3
	v_readlane_b32 s0, v126, 34
	s_waitcnt vmcnt(0)
	v_mul_hi_u32 v4, v3, v4
	v_xor_b32_e32 v2, s0, v2
	v_readlane_b32 s0, v126, 35
	s_nop 1
	v_mul_lo_u32 v5, v4, s0
	v_sub_u32_e32 v3, v3, v5
	v_add_u32_e32 v5, 1, v4
	v_cmp_le_u32_e32 vcc, s0, v3
	s_nop 1
	v_cndmask_b32_e32 v4, v4, v5, vcc
	v_subrev_u32_e32 v5, s0, v3
	v_cndmask_b32_e32 v3, v3, v5, vcc
	v_add_u32_e32 v5, 1, v4
	v_cmp_le_u32_e32 vcc, s0, v3
	v_readlane_b32 s0, v126, 36
	s_nop 0
	v_cndmask_b32_e32 v3, v4, v5, vcc
	scratch_load_dword v5, off, off offset:4 ; 4-byte Folded Reload
	v_xor_b32_e32 v3, v3, v2
	v_sub_u32_e32 v2, v3, v2
	v_mul_lo_u32 v3, v2, s16
	v_sub_u32_e32 v4, 0, v2
	v_sub_u32_e32 v71, v0, v3
	v_ashrrev_i32_e32 v3, 31, v2
	v_max_i32_e32 v4, v2, v4
	v_xor_b32_e32 v3, s0, v3
	v_readlane_b32 s0, v126, 37
	s_waitcnt vmcnt(0)
	v_mul_hi_u32 v5, v4, v5
	v_mul_lo_u32 v6, v5, s0
	v_sub_u32_e32 v4, v4, v6
	v_add_u32_e32 v6, 1, v5
	v_cmp_le_u32_e32 vcc, s0, v4
	s_nop 1
	v_cndmask_b32_e32 v5, v5, v6, vcc
	v_subrev_u32_e32 v6, s0, v4
	v_cndmask_b32_e32 v4, v4, v6, vcc
	v_add_u32_e32 v6, 1, v5
	v_cmp_le_u32_e32 vcc, s0, v4
	v_readlane_b32 s0, v126, 1
	v_readlane_b32 s3, v126, 4
	v_cndmask_b32_e32 v4, v5, v6, vcc
	scratch_load_dword v5, off, off offset:8 ; 4-byte Folded Reload
	v_xor_b32_e32 v4, v4, v3
	v_sub_u32_e32 v3, v4, v3
	v_mul_lo_u32 v4, v3, s3
	v_sub_u32_e32 v72, v2, v4
	v_sub_u32_e32 v4, 0, v3
	v_ashrrev_i32_e32 v2, 31, v3
	v_readlane_b32 s0, v126, 38
	v_max_i32_e32 v4, v3, v4
	v_readlane_b32 s2, v126, 3
	v_xor_b32_e32 v2, s0, v2
	v_readlane_b32 s0, v126, 39
	v_readlane_b32 s1, v126, 2
	s_waitcnt vmcnt(0)
	v_mul_hi_u32 v5, v4, v5
	v_mul_lo_u32 v6, v5, s0
	v_sub_u32_e32 v4, v4, v6
	v_add_u32_e32 v6, 1, v5
	v_cmp_le_u32_e32 vcc, s0, v4
	s_nop 1
	v_cndmask_b32_e32 v5, v5, v6, vcc
	v_subrev_u32_e32 v6, s0, v4
	v_cndmask_b32_e32 v4, v4, v6, vcc
	v_add_u32_e32 v6, 1, v5
	v_cmp_le_u32_e32 vcc, s0, v4
	v_readlane_b32 s0, v126, 13
	s_nop 0
	v_cndmask_b32_e32 v4, v5, v6, vcc
	scratch_load_dword v5, off, off offset:12 ; 4-byte Folded Reload
	v_xor_b32_e32 v4, v4, v2
	v_sub_u32_e32 v2, v4, v2
	v_mul_lo_u32 v4, v2, s2
	v_sub_u32_e32 v73, v3, v4
	v_sub_u32_e32 v4, 0, v2
	v_ashrrev_i32_e32 v3, 31, v2
	v_max_i32_e32 v4, v2, v4
	v_xor_b32_e32 v3, s0, v3
	v_readlane_b32 s0, v126, 0
	s_waitcnt vmcnt(0)
	v_mul_hi_u32 v5, v4, v5
	v_mul_lo_u32 v6, v5, s0
	v_sub_u32_e32 v4, v4, v6
	v_add_u32_e32 v6, 1, v5
	v_cmp_le_u32_e32 vcc, s0, v4
	s_nop 1
	v_cndmask_b32_e32 v5, v5, v6, vcc
	v_subrev_u32_e32 v6, s0, v4
	v_cndmask_b32_e32 v4, v4, v6, vcc
	v_add_u32_e32 v6, 1, v5
	v_cmp_le_u32_e32 vcc, s0, v4
	s_nop 1
	v_cndmask_b32_e32 v4, v5, v6, vcc
	v_xor_b32_e32 v4, v4, v3
	v_sub_u32_e32 v75, v4, v3
	v_mul_lo_u32 v3, v75, s1
	v_readlane_b32 s0, v126, 20
	v_readlane_b32 s1, v126, 21
	s_andn2_b64 vcc, exec, s[0:1]
	v_sub_u32_e32 v74, v2, v3
	s_cbranch_vccnz .LBB20_60
; %bb.3:                                ;   in Loop: Header=BB20_2 Depth=1
	scratch_load_dword v14, off, off offset:16 ; 4-byte Folded Reload
	scratch_load_dword v11, off, off offset:20 ; 4-byte Folded Reload
	v_readlane_b32 s40, v126, 44
	v_readlane_b32 s43, v126, 47
	;; [unrolled: 1-line block ×4, first 2 shown]
	v_add_u32_e32 v3, s43, v73
	v_sub_u32_e32 v6, 0, v3
	v_max_i32_e32 v6, v3, v6
	v_add_u32_e32 v4, s44, v72
	v_readlane_b32 s5, v126, 43
	v_ashrrev_i32_e32 v5, 31, v3
	v_readlane_b32 s24, v126, 40
	v_readlane_b32 s6, v126, 42
	;; [unrolled: 1-line block ×3, first 2 shown]
	v_xor_b32_e32 v5, s24, v5
	v_readlane_b32 s8, v126, 52
	v_add_u32_e32 v2, s45, v71
	v_readlane_b32 s47, v126, 51
	v_readlane_b32 s46, v126, 50
	;; [unrolled: 1-line block ×8, first 2 shown]
                                        ; implicit-def: $vgpr127 : SGPR spill to VGPR lane
	v_mov_b32_e32 v78, 0
	s_waitcnt vmcnt(1)
	v_mul_hi_u32 v7, v6, v14
	v_mul_lo_u32 v8, v7, s4
	v_sub_u32_e32 v6, v6, v8
	v_add_u32_e32 v8, 1, v7
	v_cmp_le_u32_e32 vcc, s4, v6
	s_nop 1
	v_cndmask_b32_e32 v7, v7, v8, vcc
	v_subrev_u32_e32 v8, s4, v6
	v_cndmask_b32_e32 v6, v6, v8, vcc
	v_add_u32_e32 v8, 1, v7
	v_cmp_le_u32_e32 vcc, s4, v6
	s_nop 1
	v_cndmask_b32_e32 v6, v7, v8, vcc
	v_sub_u32_e32 v7, 0, v4
	v_max_i32_e32 v7, v4, v7
	s_waitcnt vmcnt(0)
	v_mul_hi_u32 v8, v7, v11
	v_mul_lo_u32 v9, v8, s5
	v_sub_u32_e32 v7, v7, v9
	v_add_u32_e32 v9, 1, v8
	v_cmp_le_u32_e64 s[0:1], s5, v7
	v_xor_b32_e32 v6, v6, v5
	v_sub_u32_e32 v6, v6, v5
	v_cndmask_b32_e64 v8, v8, v9, s[0:1]
	v_subrev_u32_e32 v9, s5, v7
	v_cndmask_b32_e64 v7, v7, v9, s[0:1]
	v_ashrrev_i32_e32 v5, 31, v4
	v_add_u32_e32 v9, 1, v8
	v_cmp_le_u32_e64 s[0:1], s5, v7
	v_xor_b32_e32 v5, s6, v5
	v_cmp_gt_i32_e32 vcc, s85, v6
	v_cndmask_b32_e64 v7, v8, v9, s[0:1]
	v_xor_b32_e32 v7, v7, v5
	v_sub_u32_e32 v42, v7, v5
	v_sub_u32_e32 v7, 0, v2
	v_max_i32_e32 v7, v2, v7
	v_mul_hi_u32 v8, v7, v70
	v_mul_lo_u32 v9, v8, s33
	v_sub_u32_e32 v7, v7, v9
	v_add_u32_e32 v9, 1, v8
	v_cmp_le_u32_e64 s[2:3], s33, v7
	v_ashrrev_i32_e32 v5, 31, v2
	v_xor_b32_e32 v5, s8, v5
	v_cndmask_b32_e64 v8, v8, v9, s[2:3]
	v_subrev_u32_e32 v9, s33, v7
	v_cndmask_b32_e64 v7, v7, v9, s[2:3]
	v_add_u32_e32 v9, 1, v8
	v_cmp_le_u32_e64 s[2:3], s33, v7
	v_cmp_gt_i32_e64 s[0:1], s86, v42
	s_nop 0
	v_cndmask_b32_e64 v7, v8, v9, s[2:3]
	v_xor_b32_e32 v7, v7, v5
	v_readlane_b32 s2, v126, 32
	v_sub_u32_e32 v54, v7, v5
	v_or_b32_e32 v15, v54, v42
	v_subrev_u32_e32 v5, s2, v4
	v_sub_u32_e32 v8, 0, v5
	v_max_i32_e32 v8, v5, v8
	v_mul_hi_u32 v9, v8, v11
	v_mul_lo_u32 v10, v9, s5
	v_sub_u32_e32 v8, v8, v10
	v_add_u32_e32 v10, 1, v9
	v_cmp_le_u32_e64 s[2:3], s5, v8
	v_ashrrev_i32_e32 v7, 31, v5
	v_xor_b32_e32 v7, s6, v7
	v_cndmask_b32_e64 v9, v9, v10, s[2:3]
	v_subrev_u32_e32 v10, s5, v8
	v_cndmask_b32_e64 v8, v8, v10, s[2:3]
	v_add_u32_e32 v10, 1, v9
	v_cmp_le_u32_e64 s[2:3], s5, v8
	s_nop 1
	v_cndmask_b32_e64 v8, v9, v10, s[2:3]
	v_xor_b32_e32 v8, v8, v7
	v_sub_u32_e32 v55, v8, v7
	v_subrev_u32_e32 v8, s47, v4
	v_sub_u32_e32 v10, 0, v8
	v_max_i32_e32 v10, v8, v10
	v_mul_hi_u32 v11, v10, v11
	v_mul_lo_u32 v12, v11, s5
	v_sub_u32_e32 v10, v10, v12
	v_add_u32_e32 v12, 1, v11
	v_cmp_le_u32_e64 s[2:3], s5, v10
	v_ashrrev_i32_e32 v9, 31, v8
	v_xor_b32_e32 v9, s6, v9
	v_cndmask_b32_e64 v11, v11, v12, s[2:3]
	v_subrev_u32_e32 v12, s5, v10
	v_cndmask_b32_e64 v10, v10, v12, s[2:3]
	v_add_u32_e32 v12, 1, v11
	v_cmp_le_u32_e64 s[2:3], s5, v10
	v_or_b32_e32 v7, v54, v55
	v_or_b32_e32 v30, v7, v6
	v_cndmask_b32_e64 v10, v11, v12, s[2:3]
	v_xor_b32_e32 v10, v10, v9
	v_readlane_b32 s2, v126, 33
	v_sub_u32_e32 v48, v10, v9
	v_or_b32_e32 v12, v54, v48
	v_subrev_u32_e32 v9, s2, v3
	v_sub_u32_e32 v10, 0, v9
	v_max_i32_e32 v10, v9, v10
	v_mul_hi_u32 v11, v10, v14
	v_mul_lo_u32 v13, v11, s4
	v_sub_u32_e32 v10, v10, v13
	v_add_u32_e32 v13, 1, v11
	v_cmp_le_u32_e64 s[2:3], s4, v10
	v_or_b32_e32 v27, v12, v6
	s_nop 0
	v_cndmask_b32_e64 v11, v11, v13, s[2:3]
	v_subrev_u32_e32 v13, s4, v10
	v_cndmask_b32_e64 v10, v10, v13, s[2:3]
	v_add_u32_e32 v13, 1, v11
	v_cmp_le_u32_e64 s[2:3], s4, v10
	s_nop 1
	v_cndmask_b32_e64 v17, v11, v13, s[2:3]
	v_subrev_u32_e32 v11, s46, v3
	v_sub_u32_e32 v13, 0, v11
	v_max_i32_e32 v13, v11, v13
	v_mul_hi_u32 v14, v13, v14
	v_mul_lo_u32 v16, v14, s4
	v_sub_u32_e32 v13, v13, v16
	v_add_u32_e32 v16, 1, v14
	v_cmp_le_u32_e64 s[2:3], s4, v13
	v_ashrrev_i32_e32 v10, 31, v11
	v_xor_b32_e32 v10, s24, v10
	v_cndmask_b32_e64 v14, v14, v16, s[2:3]
	v_subrev_u32_e32 v16, s4, v13
	v_cndmask_b32_e64 v13, v13, v16, s[2:3]
	v_add_u32_e32 v16, 1, v14
	v_cmp_le_u32_e64 s[2:3], s4, v13
	s_nop 1
	v_cndmask_b32_e64 v13, v14, v16, s[2:3]
	v_xor_b32_e32 v13, v13, v10
	v_sub_u32_e32 v24, v13, v10
	v_or_b32_e32 v10, v15, v6
	v_cmp_gt_i32_e64 s[2:3], s87, v54
	v_cmp_lt_i32_e64 s[4:5], -1, v10
	s_and_b64 s[10:11], s[2:3], s[0:1]
	s_and_b64 s[4:5], s[10:11], s[4:5]
	s_and_b64 s[4:5], s[4:5], vcc
	v_writelane_b32 v126, s4, 57
	v_or_b32_e32 v20, v15, v24
	v_mul_lo_u32 v36, v24, s86
	v_writelane_b32 v126, s5, 58
	s_nop 0
	v_readlane_b32 s4, v126, 30
	s_nop 1
	v_subrev_u32_e32 v10, s4, v2
	v_sub_u32_e32 v14, 0, v10
	v_max_i32_e32 v14, v10, v14
	v_mul_hi_u32 v16, v14, v70
	v_mul_lo_u32 v18, v16, s33
	v_sub_u32_e32 v14, v14, v18
	v_add_u32_e32 v18, 1, v16
	v_cmp_le_u32_e64 s[4:5], s33, v14
	v_ashrrev_i32_e32 v13, 31, v10
	v_xor_b32_e32 v13, s8, v13
	v_cndmask_b32_e64 v16, v16, v18, s[4:5]
	v_subrev_u32_e32 v18, s33, v14
	v_cndmask_b32_e64 v14, v14, v18, s[4:5]
	v_add_u32_e32 v18, 1, v16
	v_cmp_le_u32_e64 s[4:5], s33, v14
	s_nop 1
	v_cndmask_b32_e64 v14, v16, v18, s[4:5]
	v_xor_b32_e32 v14, v14, v13
	v_sub_u32_e32 v56, v14, v13
	v_or_b32_e32 v19, v56, v42
	v_or_b32_e32 v13, v19, v6
	v_cmp_gt_i32_e64 s[4:5], s87, v56
	v_cmp_lt_i32_e64 s[6:7], -1, v13
	s_and_b64 s[12:13], s[4:5], s[0:1]
	s_and_b64 s[6:7], s[12:13], s[6:7]
	s_and_b64 s[6:7], s[6:7], vcc
	v_writelane_b32 v126, s6, 59
	v_or_b32_e32 v18, v56, v48
	v_or_b32_e32 v28, v18, v6
	v_writelane_b32 v126, s7, 60
	v_or_b32_e32 v14, v56, v55
	v_readlane_b32 s6, v126, 31
	v_or_b32_e32 v31, v14, v6
	v_or_b32_e32 v21, v19, v24
	v_subrev_u32_e32 v13, s6, v2
	v_sub_u32_e32 v22, 0, v13
	v_max_i32_e32 v22, v13, v22
	v_mul_hi_u32 v23, v22, v70
	v_mul_lo_u32 v25, v23, s33
	v_sub_u32_e32 v22, v22, v25
	v_add_u32_e32 v25, 1, v23
	v_cmp_le_u32_e64 s[6:7], s33, v22
	v_ashrrev_i32_e32 v16, 31, v13
	v_xor_b32_e32 v16, s8, v16
	v_cndmask_b32_e64 v23, v23, v25, s[6:7]
	v_subrev_u32_e32 v25, s33, v22
	v_cndmask_b32_e64 v22, v22, v25, s[6:7]
	v_add_u32_e32 v25, 1, v23
	v_cmp_le_u32_e64 s[6:7], s33, v22
	s_nop 1
	v_cndmask_b32_e64 v22, v23, v25, s[6:7]
	v_xor_b32_e32 v22, v22, v16
	v_sub_u32_e32 v58, v22, v16
	v_or_b32_e32 v23, v58, v42
	v_or_b32_e32 v26, v23, v6
	v_cmp_gt_i32_e64 s[8:9], s87, v58
	v_cmp_lt_i32_e64 s[6:7], -1, v26
	s_and_b64 s[14:15], s[8:9], s[0:1]
	s_and_b64 s[0:1], s[14:15], s[6:7]
	s_and_b64 s[0:1], s[0:1], vcc
	v_writelane_b32 v126, s0, 61
	v_cmp_lt_i32_e64 s[6:7], -1, v27
	v_or_b32_e32 v22, v58, v48
	v_writelane_b32 v126, s1, 62
	v_cmp_gt_i32_e64 s[0:1], s86, v48
	s_and_b64 s[18:19], s[2:3], s[0:1]
	s_and_b64 s[6:7], s[18:19], s[6:7]
	s_and_b64 s[6:7], s[6:7], vcc
	v_writelane_b32 v126, s6, 63
	s_and_b64 s[20:21], s[4:5], s[0:1]
	v_or_b32_e32 v29, v22, v6
	v_writelane_b32 v127, s7, 0
	v_cmp_lt_i32_e64 s[6:7], -1, v28
	s_and_b64 s[6:7], s[20:21], s[6:7]
	s_and_b64 s[6:7], s[6:7], vcc
	v_writelane_b32 v127, s6, 1
	s_and_b64 s[22:23], s[8:9], s[0:1]
	v_or_b32_e32 v16, v58, v55
	v_writelane_b32 v127, s7, 2
	v_cmp_lt_i32_e64 s[6:7], -1, v29
	s_and_b64 s[0:1], s[22:23], s[6:7]
	s_and_b64 s[0:1], s[0:1], vcc
	v_writelane_b32 v127, s0, 3
	v_cmp_lt_i32_e64 s[6:7], -1, v30
	v_or_b32_e32 v32, v16, v6
	v_writelane_b32 v127, s1, 4
	v_cmp_gt_i32_e64 s[0:1], s86, v55
	s_and_b64 s[16:17], s[2:3], s[0:1]
	s_and_b64 s[2:3], s[16:17], s[6:7]
	s_and_b64 s[2:3], s[2:3], vcc
	v_writelane_b32 v127, s2, 5
	s_and_b64 s[6:7], s[4:5], s[0:1]
	s_and_b64 s[8:9], s[8:9], s[0:1]
	v_writelane_b32 v127, s3, 6
	v_cmp_lt_i32_e64 s[2:3], -1, v31
	s_and_b64 s[2:3], s[6:7], s[2:3]
	s_and_b64 s[80:81], s[2:3], vcc
	v_cmp_lt_i32_e64 s[2:3], -1, v32
	s_and_b64 s[0:1], s[8:9], s[2:3]
	s_and_b64 s[78:79], s[0:1], vcc
	v_cmp_lt_i32_e64 s[0:1], -1, v20
	v_cmp_gt_i32_e32 vcc, s85, v24
	s_and_b64 s[0:1], s[10:11], s[0:1]
	s_and_b64 s[76:77], s[0:1], vcc
	v_cmp_lt_i32_e64 s[0:1], -1, v21
	v_or_b32_e32 v25, v23, v24
	s_and_b64 s[0:1], s[12:13], s[0:1]
	s_and_b64 s[64:65], s[0:1], vcc
	v_cmp_lt_i32_e64 s[0:1], -1, v25
	v_or_b32_e32 v26, v12, v24
	;; [unrolled: 4-line block ×6, first 2 shown]
	s_and_b64 s[0:1], s[16:17], s[0:1]
	v_ashrrev_i32_e32 v20, 31, v9
	s_and_b64 s[56:57], s[0:1], vcc
	v_cmp_lt_i32_e64 s[0:1], -1, v30
	v_xor_b32_e32 v20, s24, v20
	v_or_b32_e32 v31, v16, v24
	s_and_b64 s[0:1], s[6:7], s[0:1]
	v_xor_b32_e32 v17, v17, v20
	s_and_b64 s[58:59], s[0:1], vcc
	v_cmp_lt_i32_e64 s[0:1], -1, v31
	v_sub_u32_e32 v43, v17, v20
	s_and_b64 s[0:1], s[8:9], s[0:1]
	v_or_b32_e32 v15, v15, v43
	s_and_b64 s[60:61], s[0:1], vcc
	v_cmp_lt_i32_e32 vcc, -1, v15
	v_or_b32_e32 v15, v19, v43
	s_and_b64 s[10:11], s[10:11], vcc
	v_cmp_lt_i32_e32 vcc, -1, v15
	;; [unrolled: 3-line block ×6, first 2 shown]
	v_mul_lo_u32 v12, v6, s40
	v_mul_lo_u32 v15, v42, s41
	;; [unrolled: 1-line block ×4, first 2 shown]
	s_and_b64 s[22:23], s[22:23], vcc
	v_cmp_eq_u32_e32 vcc, v12, v3
	v_cmp_eq_u32_e64 s[0:1], v15, v4
	v_cmp_eq_u32_e64 s[2:3], v17, v8
	v_cmp_eq_u32_e64 s[4:5], v18, v5
	v_mul_lo_u32 v3, v24, s40
	s_and_b64 s[24:25], vcc, s[0:1]
	s_and_b64 s[26:27], vcc, s[2:3]
	;; [unrolled: 1-line block ×3, first 2 shown]
	v_cmp_eq_u32_e32 vcc, v3, v11
	v_mul_lo_u32 v3, v43, s40
	s_and_b64 s[30:31], vcc, s[0:1]
	s_and_b64 s[34:35], vcc, s[2:3]
	;; [unrolled: 1-line block ×3, first 2 shown]
	v_cmp_eq_u32_e32 vcc, v3, v9
	v_or_b32_e32 v3, v7, v43
	s_and_b64 s[40:41], vcc, s[0:1]
	s_and_b64 s[46:47], vcc, s[2:3]
	s_and_b64 s[54:55], vcc, s[4:5]
	v_cmp_lt_i32_e32 vcc, -1, v3
	v_or_b32_e32 v3, v14, v43
	s_and_b64 s[0:1], s[16:17], vcc
	v_cmp_lt_i32_e32 vcc, -1, v3
	v_or_b32_e32 v3, v16, v43
	s_and_b64 s[2:3], s[6:7], vcc
	v_cmp_lt_i32_e32 vcc, -1, v3
	v_mul_lo_u32 v3, v54, s42
	v_mul_lo_u32 v4, v56, s42
	;; [unrolled: 1-line block ×3, first 2 shown]
	s_and_b64 s[4:5], s[8:9], vcc
	v_cmp_gt_i32_e32 vcc, s85, v43
	v_cmp_eq_u32_e64 s[48:49], v3, v2
	v_cmp_eq_u32_e64 s[50:51], v4, v10
	;; [unrolled: 1-line block ×3, first 2 shown]
	v_readlane_b32 s88, v126, 19
	s_and_b64 s[62:63], s[10:11], vcc
	s_and_b64 s[68:69], s[12:13], vcc
	;; [unrolled: 1-line block ×9, first 2 shown]
	s_and_b64 vcc, s[24:25], s[48:49]
	s_and_b64 s[0:1], s[24:25], s[50:51]
	s_and_b64 s[2:3], s[24:25], s[52:53]
	;; [unrolled: 1-line block ×26, first 2 shown]
	v_mul_lo_u32 v76, v74, s88
	v_readlane_b32 s54, v126, 14
	v_mul_lo_u32 v18, v6, s86
	v_mul_lo_u32 v57, v43, s86
	;; [unrolled: 1-line block ×3, first 2 shown]
	v_readlane_b32 s54, v126, 22
	v_ashrrev_i32_e32 v3, 31, v2
	v_readlane_b32 s55, v126, 23
	v_add_u32_e32 v6, v42, v18
	v_add_u32_e32 v12, v48, v18
	v_lshl_add_u64 v[2:3], v[2:3], 2, s[54:55]
	v_readlane_b32 s54, v126, 15
	v_readlane_b32 s55, v126, 16
	v_add_u32_e32 v18, v55, v18
	v_mul_lo_u32 v4, s54, v75
	v_readlane_b32 s54, v126, 7
	v_ashrrev_i32_e32 v5, 31, v4
	v_readlane_b32 s55, v126, 8
	v_add_u32_e32 v24, v42, v36
	v_add_u32_e32 v30, v48, v36
	v_lshl_add_u64 v[4:5], v[4:5], 2, s[54:55]
	v_add_u32_e32 v36, v55, v36
	v_add_u32_e32 v42, v42, v57
	;; [unrolled: 1-line block ×4, first 2 shown]
	v_readlane_b32 s54, v126, 15
	v_mul_lo_u32 v10, v6, s87
	v_mul_lo_u32 v16, v12, s87
	;; [unrolled: 1-line block ×9, first 2 shown]
	v_readlane_b32 s55, v126, 16
	v_add_u32_e32 v6, v54, v10
	v_add_u32_e32 v8, v56, v10
	;; [unrolled: 1-line block ×27, first 2 shown]
	s_mul_i32 s54, s55, s88
	v_add_u32_e32 v77, s88, v76
	v_ashrrev_i32_e32 v7, 31, v6
	v_ashrrev_i32_e32 v9, 31, v8
	;; [unrolled: 1-line block ×27, first 2 shown]
	v_mul_lo_u32 v60, s54, v74
	s_mov_b64 s[86:87], 0
	s_branch .LBB20_5
.LBB20_4:                               ;   in Loop: Header=BB20_5 Depth=2
	s_or_b64 exec, exec, s[54:55]
	s_waitcnt vmcnt(26)
	v_fma_f32 v61, v79, v61, v78
	v_cndmask_b32_e32 v61, v78, v61, vcc
	s_waitcnt vmcnt(25)
	v_fma_f32 v62, v80, v82, v61
	v_cndmask_b32_e64 v61, v61, v62, s[0:1]
	s_waitcnt vmcnt(24)
	v_fma_f32 v62, v83, v81, v61
	v_cndmask_b32_e64 v61, v61, v62, s[2:3]
	;; [unrolled: 3-line block ×24, first 2 shown]
	s_mov_b64 s[54:55], 0x6c
	v_add_u32_e32 v76, 1, v76
	s_waitcnt vmcnt(1)
	v_fma_f32 v62, v66, v68, v61
	v_lshl_add_u64 v[2:3], v[2:3], 0, s[54:55]
	v_cmp_ge_i32_e64 s[54:55], v76, v77
	v_cndmask_b32_e64 v61, v61, v62, s[50:51]
	s_or_b64 s[86:87], s[54:55], s[86:87]
	v_readlane_b32 s54, v126, 15
	s_waitcnt vmcnt(0)
	v_fma_f32 v62, v69, v67, v61
	v_readlane_b32 s55, v126, 16
	v_cndmask_b32_e64 v78, v61, v62, s[52:53]
	s_nop 0
	v_add_u32_e32 v60, s55, v60
	s_andn2_b64 exec, exec, s[86:87]
	s_cbranch_execz .LBB20_59
.LBB20_5:                               ;   Parent Loop BB20_2 Depth=1
                                        ; =>  This Inner Loop Header: Depth=2
	global_load_dword v79, v[2:3], off
	v_ashrrev_i32_e32 v61, 31, v60
	v_lshl_add_u64 v[62:63], v[60:61], 2, v[4:5]
	v_mov_b32_e32 v61, 0
	s_mov_b64 s[54:55], exec
	v_readlane_b32 s88, v126, 57
	v_readlane_b32 s89, v126, 58
	s_and_b64 s[88:89], s[54:55], s[88:89]
	s_mov_b64 exec, s[88:89]
	s_cbranch_execz .LBB20_7
; %bb.6:                                ;   in Loop: Header=BB20_5 Depth=2
	v_lshl_add_u64 v[64:65], v[6:7], 2, v[62:63]
	global_load_dword v61, v[64:65], off
.LBB20_7:                               ;   in Loop: Header=BB20_5 Depth=2
	s_or_b64 exec, exec, s[54:55]
	global_load_dword v80, v[2:3], off offset:4
	v_mov_b32_e32 v81, 0
	v_mov_b32_e32 v82, 0
	s_mov_b64 s[54:55], exec
	v_readlane_b32 s88, v126, 59
	v_readlane_b32 s89, v126, 60
	s_and_b64 s[88:89], s[54:55], s[88:89]
	s_mov_b64 exec, s[88:89]
	s_cbranch_execz .LBB20_9
; %bb.8:                                ;   in Loop: Header=BB20_5 Depth=2
	v_lshl_add_u64 v[64:65], v[8:9], 2, v[62:63]
	global_load_dword v82, v[64:65], off
.LBB20_9:                               ;   in Loop: Header=BB20_5 Depth=2
	s_or_b64 exec, exec, s[54:55]
	global_load_dword v83, v[2:3], off offset:8
	s_mov_b64 s[54:55], exec
	v_readlane_b32 s88, v126, 61
	v_readlane_b32 s89, v126, 62
	s_and_b64 s[88:89], s[54:55], s[88:89]
	s_mov_b64 exec, s[88:89]
	s_cbranch_execz .LBB20_11
; %bb.10:                               ;   in Loop: Header=BB20_5 Depth=2
	v_lshl_add_u64 v[64:65], v[10:11], 2, v[62:63]
	global_load_dword v81, v[64:65], off
.LBB20_11:                              ;   in Loop: Header=BB20_5 Depth=2
	s_or_b64 exec, exec, s[54:55]
	global_load_dword v84, v[2:3], off offset:12
	v_mov_b32_e32 v85, 0
	v_mov_b32_e32 v86, 0
	s_mov_b64 s[54:55], exec
	v_readlane_b32 s88, v126, 63
	v_readlane_b32 s89, v127, 0
	s_and_b64 s[88:89], s[54:55], s[88:89]
	s_mov_b64 exec, s[88:89]
	s_cbranch_execz .LBB20_13
; %bb.12:                               ;   in Loop: Header=BB20_5 Depth=2
	v_lshl_add_u64 v[64:65], v[12:13], 2, v[62:63]
	global_load_dword v86, v[64:65], off
.LBB20_13:                              ;   in Loop: Header=BB20_5 Depth=2
	s_or_b64 exec, exec, s[54:55]
	global_load_dword v87, v[2:3], off offset:16
	s_mov_b64 s[54:55], exec
	v_readlane_b32 s88, v127, 1
	v_readlane_b32 s89, v127, 2
	s_and_b64 s[88:89], s[54:55], s[88:89]
	s_mov_b64 exec, s[88:89]
	s_cbranch_execz .LBB20_15
; %bb.14:                               ;   in Loop: Header=BB20_5 Depth=2
	v_lshl_add_u64 v[64:65], v[14:15], 2, v[62:63]
	global_load_dword v85, v[64:65], off
.LBB20_15:                              ;   in Loop: Header=BB20_5 Depth=2
	s_or_b64 exec, exec, s[54:55]
	global_load_dword v88, v[2:3], off offset:20
	v_mov_b32_e32 v89, 0
	v_mov_b32_e32 v90, 0
	s_mov_b64 s[54:55], exec
	v_readlane_b32 s88, v127, 3
	v_readlane_b32 s89, v127, 4
	s_and_b64 s[88:89], s[54:55], s[88:89]
	s_mov_b64 exec, s[88:89]
	s_cbranch_execz .LBB20_17
; %bb.16:                               ;   in Loop: Header=BB20_5 Depth=2
	v_lshl_add_u64 v[64:65], v[16:17], 2, v[62:63]
	global_load_dword v90, v[64:65], off
.LBB20_17:                              ;   in Loop: Header=BB20_5 Depth=2
	s_or_b64 exec, exec, s[54:55]
	global_load_dword v91, v[2:3], off offset:24
	s_mov_b64 s[54:55], exec
	v_readlane_b32 s88, v127, 5
	v_readlane_b32 s89, v127, 6
	s_and_b64 s[88:89], s[54:55], s[88:89]
	s_mov_b64 exec, s[88:89]
	s_cbranch_execz .LBB20_19
; %bb.18:                               ;   in Loop: Header=BB20_5 Depth=2
	v_lshl_add_u64 v[64:65], v[18:19], 2, v[62:63]
	global_load_dword v89, v[64:65], off
.LBB20_19:                              ;   in Loop: Header=BB20_5 Depth=2
	s_or_b64 exec, exec, s[54:55]
	global_load_dword v92, v[2:3], off offset:28
	v_mov_b32_e32 v93, 0
	v_mov_b32_e32 v94, 0
	s_and_saveexec_b64 s[54:55], s[80:81]
	s_cbranch_execz .LBB20_21
; %bb.20:                               ;   in Loop: Header=BB20_5 Depth=2
	v_lshl_add_u64 v[64:65], v[20:21], 2, v[62:63]
	global_load_dword v94, v[64:65], off
.LBB20_21:                              ;   in Loop: Header=BB20_5 Depth=2
	s_or_b64 exec, exec, s[54:55]
	global_load_dword v95, v[2:3], off offset:32
	s_and_saveexec_b64 s[54:55], s[78:79]
	s_cbranch_execz .LBB20_23
; %bb.22:                               ;   in Loop: Header=BB20_5 Depth=2
	v_lshl_add_u64 v[64:65], v[22:23], 2, v[62:63]
	global_load_dword v93, v[64:65], off
.LBB20_23:                              ;   in Loop: Header=BB20_5 Depth=2
	s_or_b64 exec, exec, s[54:55]
	global_load_dword v96, v[2:3], off offset:36
	v_mov_b32_e32 v97, 0
	v_mov_b32_e32 v98, 0
	s_and_saveexec_b64 s[54:55], s[76:77]
	s_cbranch_execz .LBB20_25
; %bb.24:                               ;   in Loop: Header=BB20_5 Depth=2
	v_lshl_add_u64 v[64:65], v[24:25], 2, v[62:63]
	global_load_dword v98, v[64:65], off
.LBB20_25:                              ;   in Loop: Header=BB20_5 Depth=2
	s_or_b64 exec, exec, s[54:55]
	global_load_dword v99, v[2:3], off offset:40
	s_and_saveexec_b64 s[54:55], s[64:65]
	;; [unrolled: 18-line block ×10, first 2 shown]
	s_cbranch_execz .LBB20_4
; %bb.58:                               ;   in Loop: Header=BB20_5 Depth=2
	v_lshl_add_u64 v[62:63], v[58:59], 2, v[62:63]
	global_load_dword v67, v[62:63], off
	s_branch .LBB20_4
.LBB20_59:                              ;   in Loop: Header=BB20_2 Depth=1
	s_or_b64 exec, exec, s[86:87]
	v_readlane_b32 s16, v126, 53
	v_readlane_b32 s17, v126, 54
	s_branch .LBB20_61
.LBB20_60:                              ;   in Loop: Header=BB20_2 Depth=1
	v_mov_b32_e32 v78, 0
.LBB20_61:                              ;   in Loop: Header=BB20_2 Depth=1
	v_readlane_b32 s4, v126, 55
	v_readlane_b32 s5, v126, 56
; %bb.62:                               ;   in Loop: Header=BB20_2 Depth=1
	v_mul_lo_u32 v2, v75, s17
	v_readlane_b32 s0, v126, 17
	v_ashrrev_i32_e32 v3, 31, v2
	v_readlane_b32 s1, v126, 18
	s_nop 1
	v_lshl_add_u64 v[2:3], v[2:3], 2, s[0:1]
	v_readlane_b32 s0, v126, 24
	v_readlane_b32 s1, v126, 25
	;; [unrolled: 1-line block ×3, first 2 shown]
	v_mul_lo_u32 v4, s0, v74
	v_ashrrev_i32_e32 v5, 31, v4
	v_lshl_add_u64 v[2:3], v[4:5], 2, v[2:3]
	v_mul_lo_u32 v4, s1, v73
	v_ashrrev_i32_e32 v5, 31, v4
	v_readlane_b32 s0, v126, 28
	v_lshl_add_u64 v[2:3], v[4:5], 2, v[2:3]
	v_mul_lo_u32 v4, s2, v72
	v_readlane_b32 s1, v126, 29
	v_readlane_b32 s3, v126, 27
	v_ashrrev_i32_e32 v5, 31, v4
	v_lshl_add_u64 v[0:1], v[0:1], 0, s[0:1]
	v_readlane_b32 s0, v126, 5
	v_lshl_add_u64 v[2:3], v[4:5], 2, v[2:3]
	v_mul_lo_u32 v4, s3, v71
	v_readlane_b32 s1, v126, 6
	v_ashrrev_i32_e32 v5, 31, v4
	v_lshl_add_u64 v[2:3], v[4:5], 2, v[2:3]
	v_cmp_le_i64_e32 vcc, s[0:1], v[0:1]
	s_or_b64 s[4:5], vcc, s[4:5]
	global_store_dword v[2:3], v78, off
	s_andn2_b64 exec, exec, s[4:5]
	s_cbranch_execnz .LBB20_2
.LBB20_63:
	s_endpgm
	.section	.rodata,"a",@progbits
	.p2align	6, 0x0
	.amdhsa_kernel _ZN2at6native12_GLOBAL__N_143conv_depthwise3d_cuda_backward_input_kernelIffLi3ELi3ELi3ELin1ELin1ELin1ELin1ELin1ELin1EEEvN5torch10headeronly6detail27GenericPackedTensorAccessorINS5_14TensorAccessorIN3c108ArrayRefIlEEKT_Lm4ENS4_16DefaultPtrTraitsEiEENS_6detail16IndexBoundsCheckILm5EiEESC_Lm5ESD_iEENS6_INS7_ISA_SB_Lm4ESD_iEESH_SB_Lm5ESD_iEESI_iiiiiiiii
		.amdhsa_group_segment_fixed_size 0
		.amdhsa_private_segment_fixed_size 28
		.amdhsa_kernarg_size 440
		.amdhsa_user_sgpr_count 2
		.amdhsa_user_sgpr_dispatch_ptr 0
		.amdhsa_user_sgpr_queue_ptr 0
		.amdhsa_user_sgpr_kernarg_segment_ptr 1
		.amdhsa_user_sgpr_dispatch_id 0
		.amdhsa_user_sgpr_kernarg_preload_length 0
		.amdhsa_user_sgpr_kernarg_preload_offset 0
		.amdhsa_user_sgpr_private_segment_size 0
		.amdhsa_uses_dynamic_stack 0
		.amdhsa_enable_private_segment 1
		.amdhsa_system_sgpr_workgroup_id_x 1
		.amdhsa_system_sgpr_workgroup_id_y 0
		.amdhsa_system_sgpr_workgroup_id_z 0
		.amdhsa_system_sgpr_workgroup_info 0
		.amdhsa_system_vgpr_workitem_id 0
		.amdhsa_next_free_vgpr 128
		.amdhsa_next_free_sgpr 100
		.amdhsa_accum_offset 128
		.amdhsa_reserve_vcc 1
		.amdhsa_float_round_mode_32 0
		.amdhsa_float_round_mode_16_64 0
		.amdhsa_float_denorm_mode_32 3
		.amdhsa_float_denorm_mode_16_64 3
		.amdhsa_dx10_clamp 1
		.amdhsa_ieee_mode 1
		.amdhsa_fp16_overflow 0
		.amdhsa_tg_split 0
		.amdhsa_exception_fp_ieee_invalid_op 0
		.amdhsa_exception_fp_denorm_src 0
		.amdhsa_exception_fp_ieee_div_zero 0
		.amdhsa_exception_fp_ieee_overflow 0
		.amdhsa_exception_fp_ieee_underflow 0
		.amdhsa_exception_fp_ieee_inexact 0
		.amdhsa_exception_int_div_zero 0
	.end_amdhsa_kernel
	.section	.text._ZN2at6native12_GLOBAL__N_143conv_depthwise3d_cuda_backward_input_kernelIffLi3ELi3ELi3ELin1ELin1ELin1ELin1ELin1ELin1EEEvN5torch10headeronly6detail27GenericPackedTensorAccessorINS5_14TensorAccessorIN3c108ArrayRefIlEEKT_Lm4ENS4_16DefaultPtrTraitsEiEENS_6detail16IndexBoundsCheckILm5EiEESC_Lm5ESD_iEENS6_INS7_ISA_SB_Lm4ESD_iEESH_SB_Lm5ESD_iEESI_iiiiiiiii,"axG",@progbits,_ZN2at6native12_GLOBAL__N_143conv_depthwise3d_cuda_backward_input_kernelIffLi3ELi3ELi3ELin1ELin1ELin1ELin1ELin1ELin1EEEvN5torch10headeronly6detail27GenericPackedTensorAccessorINS5_14TensorAccessorIN3c108ArrayRefIlEEKT_Lm4ENS4_16DefaultPtrTraitsEiEENS_6detail16IndexBoundsCheckILm5EiEESC_Lm5ESD_iEENS6_INS7_ISA_SB_Lm4ESD_iEESH_SB_Lm5ESD_iEESI_iiiiiiiii,comdat
.Lfunc_end20:
	.size	_ZN2at6native12_GLOBAL__N_143conv_depthwise3d_cuda_backward_input_kernelIffLi3ELi3ELi3ELin1ELin1ELin1ELin1ELin1ELin1EEEvN5torch10headeronly6detail27GenericPackedTensorAccessorINS5_14TensorAccessorIN3c108ArrayRefIlEEKT_Lm4ENS4_16DefaultPtrTraitsEiEENS_6detail16IndexBoundsCheckILm5EiEESC_Lm5ESD_iEENS6_INS7_ISA_SB_Lm4ESD_iEESH_SB_Lm5ESD_iEESI_iiiiiiiii, .Lfunc_end20-_ZN2at6native12_GLOBAL__N_143conv_depthwise3d_cuda_backward_input_kernelIffLi3ELi3ELi3ELin1ELin1ELin1ELin1ELin1ELin1EEEvN5torch10headeronly6detail27GenericPackedTensorAccessorINS5_14TensorAccessorIN3c108ArrayRefIlEEKT_Lm4ENS4_16DefaultPtrTraitsEiEENS_6detail16IndexBoundsCheckILm5EiEESC_Lm5ESD_iEENS6_INS7_ISA_SB_Lm4ESD_iEESH_SB_Lm5ESD_iEESI_iiiiiiiii
                                        ; -- End function
	.set _ZN2at6native12_GLOBAL__N_143conv_depthwise3d_cuda_backward_input_kernelIffLi3ELi3ELi3ELin1ELin1ELin1ELin1ELin1ELin1EEEvN5torch10headeronly6detail27GenericPackedTensorAccessorINS5_14TensorAccessorIN3c108ArrayRefIlEEKT_Lm4ENS4_16DefaultPtrTraitsEiEENS_6detail16IndexBoundsCheckILm5EiEESC_Lm5ESD_iEENS6_INS7_ISA_SB_Lm4ESD_iEESH_SB_Lm5ESD_iEESI_iiiiiiiii.num_vgpr, 128
	.set _ZN2at6native12_GLOBAL__N_143conv_depthwise3d_cuda_backward_input_kernelIffLi3ELi3ELi3ELin1ELin1ELin1ELin1ELin1ELin1EEEvN5torch10headeronly6detail27GenericPackedTensorAccessorINS5_14TensorAccessorIN3c108ArrayRefIlEEKT_Lm4ENS4_16DefaultPtrTraitsEiEENS_6detail16IndexBoundsCheckILm5EiEESC_Lm5ESD_iEENS6_INS7_ISA_SB_Lm4ESD_iEESH_SB_Lm5ESD_iEESI_iiiiiiiii.num_agpr, 0
	.set _ZN2at6native12_GLOBAL__N_143conv_depthwise3d_cuda_backward_input_kernelIffLi3ELi3ELi3ELin1ELin1ELin1ELin1ELin1ELin1EEEvN5torch10headeronly6detail27GenericPackedTensorAccessorINS5_14TensorAccessorIN3c108ArrayRefIlEEKT_Lm4ENS4_16DefaultPtrTraitsEiEENS_6detail16IndexBoundsCheckILm5EiEESC_Lm5ESD_iEENS6_INS7_ISA_SB_Lm4ESD_iEESH_SB_Lm5ESD_iEESI_iiiiiiiii.numbered_sgpr, 100
	.set _ZN2at6native12_GLOBAL__N_143conv_depthwise3d_cuda_backward_input_kernelIffLi3ELi3ELi3ELin1ELin1ELin1ELin1ELin1ELin1EEEvN5torch10headeronly6detail27GenericPackedTensorAccessorINS5_14TensorAccessorIN3c108ArrayRefIlEEKT_Lm4ENS4_16DefaultPtrTraitsEiEENS_6detail16IndexBoundsCheckILm5EiEESC_Lm5ESD_iEENS6_INS7_ISA_SB_Lm4ESD_iEESH_SB_Lm5ESD_iEESI_iiiiiiiii.num_named_barrier, 0
	.set _ZN2at6native12_GLOBAL__N_143conv_depthwise3d_cuda_backward_input_kernelIffLi3ELi3ELi3ELin1ELin1ELin1ELin1ELin1ELin1EEEvN5torch10headeronly6detail27GenericPackedTensorAccessorINS5_14TensorAccessorIN3c108ArrayRefIlEEKT_Lm4ENS4_16DefaultPtrTraitsEiEENS_6detail16IndexBoundsCheckILm5EiEESC_Lm5ESD_iEENS6_INS7_ISA_SB_Lm4ESD_iEESH_SB_Lm5ESD_iEESI_iiiiiiiii.private_seg_size, 28
	.set _ZN2at6native12_GLOBAL__N_143conv_depthwise3d_cuda_backward_input_kernelIffLi3ELi3ELi3ELin1ELin1ELin1ELin1ELin1ELin1EEEvN5torch10headeronly6detail27GenericPackedTensorAccessorINS5_14TensorAccessorIN3c108ArrayRefIlEEKT_Lm4ENS4_16DefaultPtrTraitsEiEENS_6detail16IndexBoundsCheckILm5EiEESC_Lm5ESD_iEENS6_INS7_ISA_SB_Lm4ESD_iEESH_SB_Lm5ESD_iEESI_iiiiiiiii.uses_vcc, 1
	.set _ZN2at6native12_GLOBAL__N_143conv_depthwise3d_cuda_backward_input_kernelIffLi3ELi3ELi3ELin1ELin1ELin1ELin1ELin1ELin1EEEvN5torch10headeronly6detail27GenericPackedTensorAccessorINS5_14TensorAccessorIN3c108ArrayRefIlEEKT_Lm4ENS4_16DefaultPtrTraitsEiEENS_6detail16IndexBoundsCheckILm5EiEESC_Lm5ESD_iEENS6_INS7_ISA_SB_Lm4ESD_iEESH_SB_Lm5ESD_iEESI_iiiiiiiii.uses_flat_scratch, 0
	.set _ZN2at6native12_GLOBAL__N_143conv_depthwise3d_cuda_backward_input_kernelIffLi3ELi3ELi3ELin1ELin1ELin1ELin1ELin1ELin1EEEvN5torch10headeronly6detail27GenericPackedTensorAccessorINS5_14TensorAccessorIN3c108ArrayRefIlEEKT_Lm4ENS4_16DefaultPtrTraitsEiEENS_6detail16IndexBoundsCheckILm5EiEESC_Lm5ESD_iEENS6_INS7_ISA_SB_Lm4ESD_iEESH_SB_Lm5ESD_iEESI_iiiiiiiii.has_dyn_sized_stack, 0
	.set _ZN2at6native12_GLOBAL__N_143conv_depthwise3d_cuda_backward_input_kernelIffLi3ELi3ELi3ELin1ELin1ELin1ELin1ELin1ELin1EEEvN5torch10headeronly6detail27GenericPackedTensorAccessorINS5_14TensorAccessorIN3c108ArrayRefIlEEKT_Lm4ENS4_16DefaultPtrTraitsEiEENS_6detail16IndexBoundsCheckILm5EiEESC_Lm5ESD_iEENS6_INS7_ISA_SB_Lm4ESD_iEESH_SB_Lm5ESD_iEESI_iiiiiiiii.has_recursion, 0
	.set _ZN2at6native12_GLOBAL__N_143conv_depthwise3d_cuda_backward_input_kernelIffLi3ELi3ELi3ELin1ELin1ELin1ELin1ELin1ELin1EEEvN5torch10headeronly6detail27GenericPackedTensorAccessorINS5_14TensorAccessorIN3c108ArrayRefIlEEKT_Lm4ENS4_16DefaultPtrTraitsEiEENS_6detail16IndexBoundsCheckILm5EiEESC_Lm5ESD_iEENS6_INS7_ISA_SB_Lm4ESD_iEESH_SB_Lm5ESD_iEESI_iiiiiiiii.has_indirect_call, 0
	.section	.AMDGPU.csdata,"",@progbits
; Kernel info:
; codeLenInByte = 6524
; TotalNumSgprs: 106
; NumVgprs: 128
; NumAgprs: 0
; TotalNumVgprs: 128
; ScratchSize: 28
; MemoryBound: 0
; FloatMode: 240
; IeeeMode: 1
; LDSByteSize: 0 bytes/workgroup (compile time only)
; SGPRBlocks: 13
; VGPRBlocks: 15
; NumSGPRsForWavesPerEU: 106
; NumVGPRsForWavesPerEU: 128
; AccumOffset: 128
; Occupancy: 4
; WaveLimiterHint : 0
; COMPUTE_PGM_RSRC2:SCRATCH_EN: 1
; COMPUTE_PGM_RSRC2:USER_SGPR: 2
; COMPUTE_PGM_RSRC2:TRAP_HANDLER: 0
; COMPUTE_PGM_RSRC2:TGID_X_EN: 1
; COMPUTE_PGM_RSRC2:TGID_Y_EN: 0
; COMPUTE_PGM_RSRC2:TGID_Z_EN: 0
; COMPUTE_PGM_RSRC2:TIDIG_COMP_CNT: 0
; COMPUTE_PGM_RSRC3_GFX90A:ACCUM_OFFSET: 31
; COMPUTE_PGM_RSRC3_GFX90A:TG_SPLIT: 0
	.section	.text._ZN2at6native12_GLOBAL__N_143conv_depthwise3d_cuda_backward_input_kernelIffLin1ELin1ELin1ELin1ELin1ELin1ELin1ELin1ELin1EEEvN5torch10headeronly6detail27GenericPackedTensorAccessorINS5_14TensorAccessorIN3c108ArrayRefIlEEKT_Lm4ENS4_16DefaultPtrTraitsEiEENS_6detail16IndexBoundsCheckILm5EiEESC_Lm5ESD_iEENS6_INS7_ISA_SB_Lm4ESD_iEESH_SB_Lm5ESD_iEESI_iiiiiiiii,"axG",@progbits,_ZN2at6native12_GLOBAL__N_143conv_depthwise3d_cuda_backward_input_kernelIffLin1ELin1ELin1ELin1ELin1ELin1ELin1ELin1ELin1EEEvN5torch10headeronly6detail27GenericPackedTensorAccessorINS5_14TensorAccessorIN3c108ArrayRefIlEEKT_Lm4ENS4_16DefaultPtrTraitsEiEENS_6detail16IndexBoundsCheckILm5EiEESC_Lm5ESD_iEENS6_INS7_ISA_SB_Lm4ESD_iEESH_SB_Lm5ESD_iEESI_iiiiiiiii,comdat
	.globl	_ZN2at6native12_GLOBAL__N_143conv_depthwise3d_cuda_backward_input_kernelIffLin1ELin1ELin1ELin1ELin1ELin1ELin1ELin1ELin1EEEvN5torch10headeronly6detail27GenericPackedTensorAccessorINS5_14TensorAccessorIN3c108ArrayRefIlEEKT_Lm4ENS4_16DefaultPtrTraitsEiEENS_6detail16IndexBoundsCheckILm5EiEESC_Lm5ESD_iEENS6_INS7_ISA_SB_Lm4ESD_iEESH_SB_Lm5ESD_iEESI_iiiiiiiii ; -- Begin function _ZN2at6native12_GLOBAL__N_143conv_depthwise3d_cuda_backward_input_kernelIffLin1ELin1ELin1ELin1ELin1ELin1ELin1ELin1ELin1EEEvN5torch10headeronly6detail27GenericPackedTensorAccessorINS5_14TensorAccessorIN3c108ArrayRefIlEEKT_Lm4ENS4_16DefaultPtrTraitsEiEENS_6detail16IndexBoundsCheckILm5EiEESC_Lm5ESD_iEENS6_INS7_ISA_SB_Lm4ESD_iEESH_SB_Lm5ESD_iEESI_iiiiiiiii
	.p2align	8
	.type	_ZN2at6native12_GLOBAL__N_143conv_depthwise3d_cuda_backward_input_kernelIffLin1ELin1ELin1ELin1ELin1ELin1ELin1ELin1ELin1EEEvN5torch10headeronly6detail27GenericPackedTensorAccessorINS5_14TensorAccessorIN3c108ArrayRefIlEEKT_Lm4ENS4_16DefaultPtrTraitsEiEENS_6detail16IndexBoundsCheckILm5EiEESC_Lm5ESD_iEENS6_INS7_ISA_SB_Lm4ESD_iEESH_SB_Lm5ESD_iEESI_iiiiiiiii,@function
_ZN2at6native12_GLOBAL__N_143conv_depthwise3d_cuda_backward_input_kernelIffLin1ELin1ELin1ELin1ELin1ELin1ELin1ELin1ELin1EEEvN5torch10headeronly6detail27GenericPackedTensorAccessorINS5_14TensorAccessorIN3c108ArrayRefIlEEKT_Lm4ENS4_16DefaultPtrTraitsEiEENS_6detail16IndexBoundsCheckILm5EiEESC_Lm5ESD_iEENS6_INS7_ISA_SB_Lm4ESD_iEESH_SB_Lm5ESD_iEESI_iiiiiiiii: ; @_ZN2at6native12_GLOBAL__N_143conv_depthwise3d_cuda_backward_input_kernelIffLin1ELin1ELin1ELin1ELin1ELin1ELin1ELin1ELin1EEEvN5torch10headeronly6detail27GenericPackedTensorAccessorINS5_14TensorAccessorIN3c108ArrayRefIlEEKT_Lm4ENS4_16DefaultPtrTraitsEiEENS_6detail16IndexBoundsCheckILm5EiEESC_Lm5ESD_iEENS6_INS7_ISA_SB_Lm4ESD_iEESH_SB_Lm5ESD_iEESI_iiiiiiiii
; %bb.0:
	s_load_dwordx4 s[20:23], s[0:1], 0x38
	s_load_dwordx2 s[10:11], s[0:1], 0x48
	s_load_dword s4, s[0:1], 0xc4
	v_mov_b32_e32 v3, s2
	v_mov_b32_e32 v1, 0
	s_waitcnt lgkmcnt(0)
	s_abs_i32 s33, s21
	v_cvt_f32_u32_e32 v2, s33
	s_add_u32 s2, s0, 0xb8
	s_mul_i32 s34, s11, s20
	s_addc_u32 s3, s1, 0
	v_rcp_iflag_f32_e32 v2, v2
	s_and_b32 s4, s4, 0xffff
	s_ashr_i32 s35, s34, 31
	v_mad_u64_u32 v[0:1], s[6:7], s4, v3, v[0:1]
	v_mul_f32_e32 v2, 0x4f7ffffe, v2
	v_cvt_u32_f32_e32 v2, v2
	v_cmp_gt_i64_e32 vcc, s[34:35], v[0:1]
	v_readfirstlane_b32 s5, v2
	s_and_saveexec_b64 s[6:7], vcc
	s_cbranch_execz .LBB21_19
; %bb.1:
	s_load_dwordx4 s[24:27], s[0:1], 0xc
	s_load_dwordx2 s[42:43], s[0:1], 0x0
	s_sub_i32 s8, 0, s33
	s_mul_i32 s9, s8, s5
	s_mul_hi_u32 s9, s5, s9
	s_waitcnt lgkmcnt(0)
	s_abs_i32 s7, s24
	s_add_i32 s5, s5, s9
	s_mul_hi_u32 s5, s7, s5
	s_mul_i32 s9, s5, s33
	s_ashr_i32 s20, s21, 31
	s_ashr_i32 s6, s24, 31
	s_load_dwordx8 s[12:19], s[0:1], 0x90
	s_load_dword s24, s[0:1], 0xb0
	s_load_dwordx4 s[28:31], s[0:1], 0x70
	s_sub_i32 s7, s7, s9
	s_xor_b32 s6, s6, s20
	s_add_i32 s9, s5, 1
	s_waitcnt lgkmcnt(0)
	s_sub_i32 s31, s7, s33
	s_cmp_ge_u32 s7, s33
	s_cselect_b32 s5, s9, s5
	s_cselect_b32 s7, s31, s7
	s_add_i32 s9, s5, 1
	s_cmp_ge_u32 s7, s33
	s_cselect_b32 s5, s9, s5
	s_xor_b32 s5, s5, s6
	s_sub_i32 s31, s5, s6
	s_cmp_gt_i32 s28, 0
	s_cselect_b64 s[44:45], -1, 0
	s_cmp_gt_i32 s29, 0
	s_cselect_b64 s[46:47], -1, 0
	;; [unrolled: 2-line block ×4, first 2 shown]
	s_abs_i32 s65, s10
	v_cvt_f32_u32_e32 v3, s65
	s_abs_i32 s67, s23
	v_cvt_f32_u32_e32 v4, s67
	s_load_dword s64, s[0:1], 0x7c
	v_rcp_iflag_f32_e32 v3, v3
	s_load_dword s5, s[2:3], 0x0
	s_load_dwordx2 s[52:53], s[0:1], 0x1c
	s_load_dwordx2 s[54:55], s[0:1], 0x30
	;; [unrolled: 1-line block ×3, first 2 shown]
	s_load_dwordx4 s[36:39], s[0:1], 0x50
	s_sub_i32 s0, 0, s65
	v_mul_f32_e32 v3, 0x4f7ffffe, v3
	v_cvt_u32_f32_e32 v3, v3
	s_abs_i32 s68, s22
	v_rcp_iflag_f32_e32 v4, v4
	s_abs_i32 s71, s12
	v_mul_lo_u32 v5, s0, v3
	v_mul_hi_u32 v5, v3, v5
	v_add_u32_e32 v8, v3, v5
	v_cvt_f32_u32_e32 v3, s68
	v_mul_f32_e32 v4, 0x4f7ffffe, v4
	v_cvt_u32_f32_e32 v4, v4
	s_sub_i32 s0, 0, s67
	v_rcp_iflag_f32_e32 v3, v3
	s_abs_i32 s73, s13
	v_mul_lo_u32 v5, s0, v4
	v_mul_hi_u32 v5, v4, v5
	v_mul_f32_e32 v3, 0x4f7ffffe, v3
	v_cvt_u32_f32_e32 v3, v3
	v_add_u32_e32 v9, v4, v5
	v_cvt_f32_u32_e32 v5, s71
	s_sub_i32 s0, 0, s68
	v_mul_lo_u32 v4, s0, v3
	v_mul_hi_u32 v4, v3, v4
	v_add_u32_e32 v10, v3, v4
	v_rcp_iflag_f32_e32 v4, v5
	v_mul_lo_u32 v3, s8, v2
	v_mul_hi_u32 v3, v2, v3
	v_add_u32_e32 v11, v2, v3
	v_mul_f32_e32 v2, 0x4f7ffffe, v4
	v_cvt_u32_f32_e32 v2, v2
	s_sub_i32 s0, 0, s71
	v_cvt_f32_u32_e32 v3, s73
	s_abs_i32 s74, s14
	v_mul_lo_u32 v4, s0, v2
	v_mul_hi_u32 v4, v2, v4
	v_add_u32_e32 v12, v2, v4
	v_cvt_f32_u32_e32 v2, s74
	v_rcp_iflag_f32_e32 v3, v3
	s_sub_i32 s0, 0, s73
	s_mov_b32 s41, 0
	v_rcp_iflag_f32_e32 v2, v2
	v_mul_f32_e32 v3, 0x4f7ffffe, v3
	v_cvt_u32_f32_e32 v3, v3
	s_waitcnt lgkmcnt(0)
	s_mul_i32 s40, s5, s4
	v_mul_f32_e32 v2, 0x4f7ffffe, v2
	v_cvt_u32_f32_e32 v2, v2
	v_mul_lo_u32 v4, s0, v3
	v_mul_hi_u32 v4, v3, v4
	s_sub_i32 s0, 0, s74
	v_add_u32_e32 v13, v3, v4
	v_mul_lo_u32 v3, s0, v2
	v_mul_hi_u32 v3, v2, v3
	s_ashr_i32 s66, s10, 31
	s_ashr_i32 s69, s23, 31
	;; [unrolled: 1-line block ×6, first 2 shown]
	v_add_u32_e32 v14, v2, v3
	s_mov_b64 s[58:59], 0
	s_branch .LBB21_4
.LBB21_2:                               ;   in Loop: Header=BB21_4 Depth=1
	s_or_b64 exec, exec, s[60:61]
.LBB21_3:                               ;   in Loop: Header=BB21_4 Depth=1
	v_mul_lo_u32 v2, v19, s11
	v_ashrrev_i32_e32 v3, 31, v2
	v_mul_lo_u32 v4, s36, v20
	v_lshl_add_u64 v[2:3], v[2:3], 2, s[54:55]
	v_ashrrev_i32_e32 v5, 31, v4
	v_lshl_add_u64 v[2:3], v[4:5], 2, v[2:3]
	v_mul_lo_u32 v4, s37, v17
	v_ashrrev_i32_e32 v5, 31, v4
	v_lshl_add_u64 v[2:3], v[4:5], 2, v[2:3]
	v_mul_lo_u32 v4, s38, v16
	;; [unrolled: 3-line block ×3, first 2 shown]
	v_lshl_add_u64 v[0:1], v[0:1], 0, s[40:41]
	v_ashrrev_i32_e32 v5, 31, v4
	v_cmp_le_i64_e32 vcc, s[34:35], v[0:1]
	v_lshl_add_u64 v[2:3], v[4:5], 2, v[2:3]
	s_or_b64 s[58:59], vcc, s[58:59]
	global_store_dword v[2:3], v18, off
	s_andn2_b64 exec, exec, s[58:59]
	s_cbranch_execz .LBB21_19
.LBB21_4:                               ; =>This Loop Header: Depth=1
                                        ;     Child Loop BB21_7 Depth 2
                                        ;       Child Loop BB21_10 Depth 3
                                        ;         Child Loop BB21_13 Depth 4
                                        ;           Child Loop BB21_16 Depth 5
	v_sub_u32_e32 v3, 0, v0
	v_max_i32_e32 v3, v0, v3
	v_mul_hi_u32 v4, v3, v8
	v_mul_lo_u32 v5, v4, s65
	v_sub_u32_e32 v3, v3, v5
	v_add_u32_e32 v5, 1, v4
	v_cmp_le_u32_e32 vcc, s65, v3
	v_ashrrev_i32_e32 v2, 31, v0
	v_xor_b32_e32 v2, s66, v2
	v_cndmask_b32_e32 v4, v4, v5, vcc
	v_subrev_u32_e32 v5, s65, v3
	v_cndmask_b32_e32 v3, v3, v5, vcc
	v_add_u32_e32 v5, 1, v4
	v_cmp_le_u32_e32 vcc, s65, v3
	s_nop 1
	v_cndmask_b32_e32 v3, v4, v5, vcc
	v_xor_b32_e32 v3, v3, v2
	v_sub_u32_e32 v2, v3, v2
	v_sub_u32_e32 v4, 0, v2
	v_max_i32_e32 v4, v2, v4
	v_mul_hi_u32 v5, v4, v9
	v_mul_lo_u32 v6, v5, s67
	v_sub_u32_e32 v4, v4, v6
	v_add_u32_e32 v6, 1, v5
	v_cmp_le_u32_e32 vcc, s67, v4
	v_mul_lo_u32 v3, v2, s10
	v_sub_u32_e32 v15, v0, v3
	v_cndmask_b32_e32 v5, v5, v6, vcc
	v_subrev_u32_e32 v6, s67, v4
	v_cndmask_b32_e32 v4, v4, v6, vcc
	v_ashrrev_i32_e32 v3, 31, v2
	v_add_u32_e32 v6, 1, v5
	v_cmp_le_u32_e32 vcc, s67, v4
	v_xor_b32_e32 v3, s69, v3
	s_nop 0
	v_cndmask_b32_e32 v4, v5, v6, vcc
	v_xor_b32_e32 v4, v4, v3
	v_sub_u32_e32 v3, v4, v3
	v_mul_lo_u32 v4, v3, s23
	v_sub_u32_e32 v16, v2, v4
	v_sub_u32_e32 v4, 0, v3
	v_max_i32_e32 v4, v3, v4
	v_mul_hi_u32 v5, v4, v10
	v_mul_lo_u32 v6, v5, s68
	v_sub_u32_e32 v4, v4, v6
	v_add_u32_e32 v6, 1, v5
	v_cmp_le_u32_e32 vcc, s68, v4
	v_ashrrev_i32_e32 v2, 31, v3
	v_xor_b32_e32 v2, s70, v2
	v_cndmask_b32_e32 v5, v5, v6, vcc
	v_subrev_u32_e32 v6, s68, v4
	v_cndmask_b32_e32 v4, v4, v6, vcc
	v_add_u32_e32 v6, 1, v5
	v_cmp_le_u32_e32 vcc, s68, v4
	s_nop 1
	v_cndmask_b32_e32 v4, v5, v6, vcc
	v_xor_b32_e32 v4, v4, v2
	v_sub_u32_e32 v2, v4, v2
	v_mul_lo_u32 v4, v2, s22
	v_sub_u32_e32 v17, v3, v4
	v_sub_u32_e32 v4, 0, v2
	v_max_i32_e32 v4, v2, v4
	v_mul_hi_u32 v5, v4, v11
	v_mul_lo_u32 v6, v5, s33
	v_sub_u32_e32 v4, v4, v6
	v_add_u32_e32 v6, 1, v5
	v_cmp_le_u32_e32 vcc, s33, v4
	v_ashrrev_i32_e32 v3, 31, v2
	v_xor_b32_e32 v3, s20, v3
	v_cndmask_b32_e32 v5, v5, v6, vcc
	v_subrev_u32_e32 v6, s33, v4
	v_cndmask_b32_e32 v4, v4, v6, vcc
	v_add_u32_e32 v6, 1, v5
	v_cmp_le_u32_e32 vcc, s33, v4
	s_nop 1
	v_cndmask_b32_e32 v4, v5, v6, vcc
	v_xor_b32_e32 v4, v4, v3
	v_sub_u32_e32 v19, v4, v3
	v_mul_lo_u32 v3, v19, s21
	s_andn2_b64 vcc, exec, s[50:51]
	v_sub_u32_e32 v20, v2, v3
	s_cbranch_vccnz .LBB21_18
; %bb.5:                                ;   in Loop: Header=BB21_4 Depth=1
	v_mul_lo_u32 v24, v20, s31
	v_mul_lo_u32 v2, s64, v24
	;; [unrolled: 1-line block ×3, first 2 shown]
	v_ashrrev_i32_e32 v3, 31, v2
	v_ashrrev_i32_e32 v5, 31, v4
	v_add_u32_e32 v21, s17, v15
	v_add_u32_e32 v22, s16, v16
	;; [unrolled: 1-line block ×4, first 2 shown]
	v_lshl_add_u64 v[2:3], v[2:3], 2, s[56:57]
	v_lshl_add_u64 v[4:5], v[4:5], 2, s[42:43]
	v_mov_b32_e32 v18, 0
	s_mov_b64 s[60:61], 0
	s_branch .LBB21_7
.LBB21_6:                               ;   in Loop: Header=BB21_7 Depth=2
	v_add_u32_e32 v24, 1, v24
	v_cmp_ge_i32_e32 vcc, v24, v25
	s_or_b64 s[60:61], vcc, s[60:61]
	s_andn2_b64 exec, exec, s[60:61]
	s_cbranch_execz .LBB21_2
.LBB21_7:                               ;   Parent Loop BB21_4 Depth=1
                                        ; =>  This Loop Header: Depth=2
                                        ;       Child Loop BB21_10 Depth 3
                                        ;         Child Loop BB21_13 Depth 4
                                        ;           Child Loop BB21_16 Depth 5
	s_andn2_b64 vcc, exec, s[44:45]
	s_cbranch_vccnz .LBB21_6
; %bb.8:                                ;   in Loop: Header=BB21_7 Depth=2
	v_mul_lo_u32 v6, s53, v24
	v_ashrrev_i32_e32 v7, 31, v6
	v_lshl_add_u64 v[6:7], v[6:7], 2, v[4:5]
	s_mov_b32 s77, 0
	s_branch .LBB21_10
.LBB21_9:                               ;   in Loop: Header=BB21_10 Depth=3
	s_add_i32 s77, s77, 1
	s_cmp_eq_u32 s77, s28
	s_cbranch_scc1 .LBB21_6
.LBB21_10:                              ;   Parent Loop BB21_4 Depth=1
                                        ;     Parent Loop BB21_7 Depth=2
                                        ; =>    This Loop Header: Depth=3
                                        ;         Child Loop BB21_13 Depth 4
                                        ;           Child Loop BB21_16 Depth 5
	s_andn2_b64 vcc, exec, s[46:47]
	s_cbranch_vccnz .LBB21_9
; %bb.11:                               ;   in Loop: Header=BB21_10 Depth=3
	s_mul_i32 s0, s18, s77
	v_subrev_u32_e32 v27, s0, v23
	v_sub_u32_e32 v28, 0, v27
	v_max_i32_e32 v28, v27, v28
	v_mul_hi_u32 v29, v28, v12
	v_mul_lo_u32 v30, v29, s71
	v_sub_u32_e32 v28, v28, v30
	v_add_u32_e32 v30, 1, v29
	v_cmp_le_u32_e32 vcc, s71, v28
	v_ashrrev_i32_e32 v26, 31, v27
	v_xor_b32_e32 v26, s72, v26
	v_cndmask_b32_e32 v29, v29, v30, vcc
	v_subrev_u32_e32 v30, s71, v28
	v_cndmask_b32_e32 v28, v28, v30, vcc
	v_add_u32_e32 v30, 1, v29
	v_cmp_le_u32_e32 vcc, s71, v28
	s_mov_b32 s78, 0
	s_nop 0
	v_cndmask_b32_e32 v28, v29, v30, vcc
	v_xor_b32_e32 v28, v28, v26
	v_sub_u32_e32 v28, v28, v26
	v_cmp_lt_i32_e64 s[0:1], -1, v28
	v_cmp_gt_i32_e64 s[2:3], s25, v28
	v_mul_lo_u32 v26, v28, s26
	v_mul_lo_u32 v28, v28, s12
	v_cmp_eq_u32_e64 s[4:5], v28, v27
	s_branch .LBB21_13
.LBB21_12:                              ;   in Loop: Header=BB21_13 Depth=4
	s_add_i32 s78, s78, 1
	s_cmp_eq_u32 s78, s29
	s_cbranch_scc1 .LBB21_9
.LBB21_13:                              ;   Parent Loop BB21_4 Depth=1
                                        ;     Parent Loop BB21_7 Depth=2
                                        ;       Parent Loop BB21_10 Depth=3
                                        ; =>      This Loop Header: Depth=4
                                        ;           Child Loop BB21_16 Depth 5
	s_andn2_b64 vcc, exec, s[48:49]
	s_cbranch_vccnz .LBB21_12
; %bb.14:                               ;   in Loop: Header=BB21_13 Depth=4
	s_mul_i32 s6, s19, s78
	v_subrev_u32_e32 v28, s6, v22
	v_sub_u32_e32 v29, 0, v28
	v_max_i32_e32 v29, v28, v29
	v_mul_hi_u32 v30, v29, v13
	v_mul_lo_u32 v31, v30, s73
	v_sub_u32_e32 v29, v29, v31
	v_add_u32_e32 v31, 1, v30
	v_cmp_le_u32_e32 vcc, s73, v29
	v_ashrrev_i32_e32 v27, 31, v28
	v_xor_b32_e32 v27, s75, v27
	v_cndmask_b32_e32 v30, v30, v31, vcc
	v_subrev_u32_e32 v31, s73, v29
	v_cndmask_b32_e32 v29, v29, v31, vcc
	v_add_u32_e32 v31, 1, v30
	v_cmp_le_u32_e32 vcc, s73, v29
	s_mov_b32 s79, s30
	s_nop 0
	v_cndmask_b32_e32 v29, v30, v31, vcc
	v_xor_b32_e32 v29, v29, v27
	v_sub_u32_e32 v29, v29, v27
	v_cmp_lt_i32_e32 vcc, -1, v29
	v_cmp_gt_i32_e64 s[6:7], s26, v29
	v_add_u32_e32 v27, v29, v26
	v_mul_lo_u32 v29, v29, s13
	v_cmp_eq_u32_e64 s[8:9], v29, v28
	v_mul_lo_u32 v27, v27, s27
	s_and_b64 s[62:63], s[4:5], s[8:9]
	v_mov_b32_e32 v28, v21
	s_branch .LBB21_16
.LBB21_15:                              ;   in Loop: Header=BB21_16 Depth=5
	s_or_b64 exec, exec, s[8:9]
	v_mul_lo_u32 v30, v30, s14
	v_cmp_eq_u32_e64 s[8:9], v28, v30
	s_waitcnt vmcnt(0)
	v_fma_f32 v29, v29, v31, v18
	s_and_b64 s[8:9], s[62:63], s[8:9]
	s_add_i32 s79, s79, -1
	v_lshl_add_u64 v[2:3], v[2:3], 0, 4
	v_cndmask_b32_e64 v18, v18, v29, s[8:9]
	s_cmp_eq_u32 s79, 0
	v_subrev_u32_e32 v28, s24, v28
	s_cbranch_scc1 .LBB21_12
.LBB21_16:                              ;   Parent Loop BB21_4 Depth=1
                                        ;     Parent Loop BB21_7 Depth=2
                                        ;       Parent Loop BB21_10 Depth=3
                                        ;         Parent Loop BB21_13 Depth=4
                                        ; =>        This Inner Loop Header: Depth=5
	global_load_dword v29, v[2:3], off
	v_sub_u32_e32 v31, 0, v28
	v_max_i32_e32 v31, v28, v31
	v_mul_hi_u32 v32, v31, v14
	v_mul_lo_u32 v33, v32, s74
	v_sub_u32_e32 v31, v31, v33
	v_add_u32_e32 v33, 1, v32
	v_cmp_le_u32_e64 s[8:9], s74, v31
	v_ashrrev_i32_e32 v30, 31, v28
	v_xor_b32_e32 v30, s76, v30
	v_cndmask_b32_e64 v32, v32, v33, s[8:9]
	v_subrev_u32_e32 v33, s74, v31
	v_cndmask_b32_e64 v31, v31, v33, s[8:9]
	v_add_u32_e32 v33, 1, v32
	v_cmp_le_u32_e64 s[8:9], s74, v31
	s_nop 1
	v_cndmask_b32_e64 v31, v32, v33, s[8:9]
	v_xor_b32_e32 v31, v31, v30
	v_sub_u32_e32 v30, v31, v30
	v_cmp_lt_i32_e64 s[8:9], -1, v30
	s_and_b64 s[8:9], s[8:9], vcc
	s_and_b64 s[80:81], s[8:9], s[0:1]
	v_cmp_gt_i32_e64 s[8:9], s27, v30
	s_and_b64 s[8:9], s[8:9], s[80:81]
	s_and_b64 s[8:9], s[8:9], s[6:7]
	;; [unrolled: 1-line block ×3, first 2 shown]
	v_mov_b32_e32 v31, 0
	s_and_saveexec_b64 s[8:9], s[80:81]
	s_cbranch_execz .LBB21_15
; %bb.17:                               ;   in Loop: Header=BB21_16 Depth=5
	v_add_u32_e32 v32, v30, v27
	v_ashrrev_i32_e32 v33, 31, v32
	v_lshl_add_u64 v[32:33], v[32:33], 2, v[6:7]
	global_load_dword v31, v[32:33], off
	s_branch .LBB21_15
.LBB21_18:                              ;   in Loop: Header=BB21_4 Depth=1
	v_mov_b32_e32 v18, 0
	s_branch .LBB21_3
.LBB21_19:
	s_endpgm
	.section	.rodata,"a",@progbits
	.p2align	6, 0x0
	.amdhsa_kernel _ZN2at6native12_GLOBAL__N_143conv_depthwise3d_cuda_backward_input_kernelIffLin1ELin1ELin1ELin1ELin1ELin1ELin1ELin1ELin1EEEvN5torch10headeronly6detail27GenericPackedTensorAccessorINS5_14TensorAccessorIN3c108ArrayRefIlEEKT_Lm4ENS4_16DefaultPtrTraitsEiEENS_6detail16IndexBoundsCheckILm5EiEESC_Lm5ESD_iEENS6_INS7_ISA_SB_Lm4ESD_iEESH_SB_Lm5ESD_iEESI_iiiiiiiii
		.amdhsa_group_segment_fixed_size 0
		.amdhsa_private_segment_fixed_size 0
		.amdhsa_kernarg_size 440
		.amdhsa_user_sgpr_count 2
		.amdhsa_user_sgpr_dispatch_ptr 0
		.amdhsa_user_sgpr_queue_ptr 0
		.amdhsa_user_sgpr_kernarg_segment_ptr 1
		.amdhsa_user_sgpr_dispatch_id 0
		.amdhsa_user_sgpr_kernarg_preload_length 0
		.amdhsa_user_sgpr_kernarg_preload_offset 0
		.amdhsa_user_sgpr_private_segment_size 0
		.amdhsa_uses_dynamic_stack 0
		.amdhsa_enable_private_segment 0
		.amdhsa_system_sgpr_workgroup_id_x 1
		.amdhsa_system_sgpr_workgroup_id_y 0
		.amdhsa_system_sgpr_workgroup_id_z 0
		.amdhsa_system_sgpr_workgroup_info 0
		.amdhsa_system_vgpr_workitem_id 0
		.amdhsa_next_free_vgpr 34
		.amdhsa_next_free_sgpr 82
		.amdhsa_accum_offset 36
		.amdhsa_reserve_vcc 1
		.amdhsa_float_round_mode_32 0
		.amdhsa_float_round_mode_16_64 0
		.amdhsa_float_denorm_mode_32 3
		.amdhsa_float_denorm_mode_16_64 3
		.amdhsa_dx10_clamp 1
		.amdhsa_ieee_mode 1
		.amdhsa_fp16_overflow 0
		.amdhsa_tg_split 0
		.amdhsa_exception_fp_ieee_invalid_op 0
		.amdhsa_exception_fp_denorm_src 0
		.amdhsa_exception_fp_ieee_div_zero 0
		.amdhsa_exception_fp_ieee_overflow 0
		.amdhsa_exception_fp_ieee_underflow 0
		.amdhsa_exception_fp_ieee_inexact 0
		.amdhsa_exception_int_div_zero 0
	.end_amdhsa_kernel
	.section	.text._ZN2at6native12_GLOBAL__N_143conv_depthwise3d_cuda_backward_input_kernelIffLin1ELin1ELin1ELin1ELin1ELin1ELin1ELin1ELin1EEEvN5torch10headeronly6detail27GenericPackedTensorAccessorINS5_14TensorAccessorIN3c108ArrayRefIlEEKT_Lm4ENS4_16DefaultPtrTraitsEiEENS_6detail16IndexBoundsCheckILm5EiEESC_Lm5ESD_iEENS6_INS7_ISA_SB_Lm4ESD_iEESH_SB_Lm5ESD_iEESI_iiiiiiiii,"axG",@progbits,_ZN2at6native12_GLOBAL__N_143conv_depthwise3d_cuda_backward_input_kernelIffLin1ELin1ELin1ELin1ELin1ELin1ELin1ELin1ELin1EEEvN5torch10headeronly6detail27GenericPackedTensorAccessorINS5_14TensorAccessorIN3c108ArrayRefIlEEKT_Lm4ENS4_16DefaultPtrTraitsEiEENS_6detail16IndexBoundsCheckILm5EiEESC_Lm5ESD_iEENS6_INS7_ISA_SB_Lm4ESD_iEESH_SB_Lm5ESD_iEESI_iiiiiiiii,comdat
.Lfunc_end21:
	.size	_ZN2at6native12_GLOBAL__N_143conv_depthwise3d_cuda_backward_input_kernelIffLin1ELin1ELin1ELin1ELin1ELin1ELin1ELin1ELin1EEEvN5torch10headeronly6detail27GenericPackedTensorAccessorINS5_14TensorAccessorIN3c108ArrayRefIlEEKT_Lm4ENS4_16DefaultPtrTraitsEiEENS_6detail16IndexBoundsCheckILm5EiEESC_Lm5ESD_iEENS6_INS7_ISA_SB_Lm4ESD_iEESH_SB_Lm5ESD_iEESI_iiiiiiiii, .Lfunc_end21-_ZN2at6native12_GLOBAL__N_143conv_depthwise3d_cuda_backward_input_kernelIffLin1ELin1ELin1ELin1ELin1ELin1ELin1ELin1ELin1EEEvN5torch10headeronly6detail27GenericPackedTensorAccessorINS5_14TensorAccessorIN3c108ArrayRefIlEEKT_Lm4ENS4_16DefaultPtrTraitsEiEENS_6detail16IndexBoundsCheckILm5EiEESC_Lm5ESD_iEENS6_INS7_ISA_SB_Lm4ESD_iEESH_SB_Lm5ESD_iEESI_iiiiiiiii
                                        ; -- End function
	.set _ZN2at6native12_GLOBAL__N_143conv_depthwise3d_cuda_backward_input_kernelIffLin1ELin1ELin1ELin1ELin1ELin1ELin1ELin1ELin1EEEvN5torch10headeronly6detail27GenericPackedTensorAccessorINS5_14TensorAccessorIN3c108ArrayRefIlEEKT_Lm4ENS4_16DefaultPtrTraitsEiEENS_6detail16IndexBoundsCheckILm5EiEESC_Lm5ESD_iEENS6_INS7_ISA_SB_Lm4ESD_iEESH_SB_Lm5ESD_iEESI_iiiiiiiii.num_vgpr, 34
	.set _ZN2at6native12_GLOBAL__N_143conv_depthwise3d_cuda_backward_input_kernelIffLin1ELin1ELin1ELin1ELin1ELin1ELin1ELin1ELin1EEEvN5torch10headeronly6detail27GenericPackedTensorAccessorINS5_14TensorAccessorIN3c108ArrayRefIlEEKT_Lm4ENS4_16DefaultPtrTraitsEiEENS_6detail16IndexBoundsCheckILm5EiEESC_Lm5ESD_iEENS6_INS7_ISA_SB_Lm4ESD_iEESH_SB_Lm5ESD_iEESI_iiiiiiiii.num_agpr, 0
	.set _ZN2at6native12_GLOBAL__N_143conv_depthwise3d_cuda_backward_input_kernelIffLin1ELin1ELin1ELin1ELin1ELin1ELin1ELin1ELin1EEEvN5torch10headeronly6detail27GenericPackedTensorAccessorINS5_14TensorAccessorIN3c108ArrayRefIlEEKT_Lm4ENS4_16DefaultPtrTraitsEiEENS_6detail16IndexBoundsCheckILm5EiEESC_Lm5ESD_iEENS6_INS7_ISA_SB_Lm4ESD_iEESH_SB_Lm5ESD_iEESI_iiiiiiiii.numbered_sgpr, 82
	.set _ZN2at6native12_GLOBAL__N_143conv_depthwise3d_cuda_backward_input_kernelIffLin1ELin1ELin1ELin1ELin1ELin1ELin1ELin1ELin1EEEvN5torch10headeronly6detail27GenericPackedTensorAccessorINS5_14TensorAccessorIN3c108ArrayRefIlEEKT_Lm4ENS4_16DefaultPtrTraitsEiEENS_6detail16IndexBoundsCheckILm5EiEESC_Lm5ESD_iEENS6_INS7_ISA_SB_Lm4ESD_iEESH_SB_Lm5ESD_iEESI_iiiiiiiii.num_named_barrier, 0
	.set _ZN2at6native12_GLOBAL__N_143conv_depthwise3d_cuda_backward_input_kernelIffLin1ELin1ELin1ELin1ELin1ELin1ELin1ELin1ELin1EEEvN5torch10headeronly6detail27GenericPackedTensorAccessorINS5_14TensorAccessorIN3c108ArrayRefIlEEKT_Lm4ENS4_16DefaultPtrTraitsEiEENS_6detail16IndexBoundsCheckILm5EiEESC_Lm5ESD_iEENS6_INS7_ISA_SB_Lm4ESD_iEESH_SB_Lm5ESD_iEESI_iiiiiiiii.private_seg_size, 0
	.set _ZN2at6native12_GLOBAL__N_143conv_depthwise3d_cuda_backward_input_kernelIffLin1ELin1ELin1ELin1ELin1ELin1ELin1ELin1ELin1EEEvN5torch10headeronly6detail27GenericPackedTensorAccessorINS5_14TensorAccessorIN3c108ArrayRefIlEEKT_Lm4ENS4_16DefaultPtrTraitsEiEENS_6detail16IndexBoundsCheckILm5EiEESC_Lm5ESD_iEENS6_INS7_ISA_SB_Lm4ESD_iEESH_SB_Lm5ESD_iEESI_iiiiiiiii.uses_vcc, 1
	.set _ZN2at6native12_GLOBAL__N_143conv_depthwise3d_cuda_backward_input_kernelIffLin1ELin1ELin1ELin1ELin1ELin1ELin1ELin1ELin1EEEvN5torch10headeronly6detail27GenericPackedTensorAccessorINS5_14TensorAccessorIN3c108ArrayRefIlEEKT_Lm4ENS4_16DefaultPtrTraitsEiEENS_6detail16IndexBoundsCheckILm5EiEESC_Lm5ESD_iEENS6_INS7_ISA_SB_Lm4ESD_iEESH_SB_Lm5ESD_iEESI_iiiiiiiii.uses_flat_scratch, 0
	.set _ZN2at6native12_GLOBAL__N_143conv_depthwise3d_cuda_backward_input_kernelIffLin1ELin1ELin1ELin1ELin1ELin1ELin1ELin1ELin1EEEvN5torch10headeronly6detail27GenericPackedTensorAccessorINS5_14TensorAccessorIN3c108ArrayRefIlEEKT_Lm4ENS4_16DefaultPtrTraitsEiEENS_6detail16IndexBoundsCheckILm5EiEESC_Lm5ESD_iEENS6_INS7_ISA_SB_Lm4ESD_iEESH_SB_Lm5ESD_iEESI_iiiiiiiii.has_dyn_sized_stack, 0
	.set _ZN2at6native12_GLOBAL__N_143conv_depthwise3d_cuda_backward_input_kernelIffLin1ELin1ELin1ELin1ELin1ELin1ELin1ELin1ELin1EEEvN5torch10headeronly6detail27GenericPackedTensorAccessorINS5_14TensorAccessorIN3c108ArrayRefIlEEKT_Lm4ENS4_16DefaultPtrTraitsEiEENS_6detail16IndexBoundsCheckILm5EiEESC_Lm5ESD_iEENS6_INS7_ISA_SB_Lm4ESD_iEESH_SB_Lm5ESD_iEESI_iiiiiiiii.has_recursion, 0
	.set _ZN2at6native12_GLOBAL__N_143conv_depthwise3d_cuda_backward_input_kernelIffLin1ELin1ELin1ELin1ELin1ELin1ELin1ELin1ELin1EEEvN5torch10headeronly6detail27GenericPackedTensorAccessorINS5_14TensorAccessorIN3c108ArrayRefIlEEKT_Lm4ENS4_16DefaultPtrTraitsEiEENS_6detail16IndexBoundsCheckILm5EiEESC_Lm5ESD_iEENS6_INS7_ISA_SB_Lm4ESD_iEESH_SB_Lm5ESD_iEESI_iiiiiiiii.has_indirect_call, 0
	.section	.AMDGPU.csdata,"",@progbits
; Kernel info:
; codeLenInByte = 1904
; TotalNumSgprs: 88
; NumVgprs: 34
; NumAgprs: 0
; TotalNumVgprs: 34
; ScratchSize: 0
; MemoryBound: 0
; FloatMode: 240
; IeeeMode: 1
; LDSByteSize: 0 bytes/workgroup (compile time only)
; SGPRBlocks: 10
; VGPRBlocks: 4
; NumSGPRsForWavesPerEU: 88
; NumVGPRsForWavesPerEU: 34
; AccumOffset: 36
; Occupancy: 8
; WaveLimiterHint : 0
; COMPUTE_PGM_RSRC2:SCRATCH_EN: 0
; COMPUTE_PGM_RSRC2:USER_SGPR: 2
; COMPUTE_PGM_RSRC2:TRAP_HANDLER: 0
; COMPUTE_PGM_RSRC2:TGID_X_EN: 1
; COMPUTE_PGM_RSRC2:TGID_Y_EN: 0
; COMPUTE_PGM_RSRC2:TGID_Z_EN: 0
; COMPUTE_PGM_RSRC2:TIDIG_COMP_CNT: 0
; COMPUTE_PGM_RSRC3_GFX90A:ACCUM_OFFSET: 8
; COMPUTE_PGM_RSRC3_GFX90A:TG_SPLIT: 0
	.section	.text._ZN2at6native12_GLOBAL__N_143conv_depthwise3d_cuda_backward_input_kernelIN3c104HalfEfLi3ELi3ELi3ELi1ELi1ELi1ELi1ELi1ELi1EEEvN5torch10headeronly6detail27GenericPackedTensorAccessorINS7_14TensorAccessorINS3_8ArrayRefIlEEKT_Lm4ENS6_16DefaultPtrTraitsEiEENS_6detail16IndexBoundsCheckILm5EiEESD_Lm5ESE_iEENS8_INS9_ISB_SC_Lm4ESE_iEESI_SC_Lm5ESE_iEESJ_iiiiiiiii,"axG",@progbits,_ZN2at6native12_GLOBAL__N_143conv_depthwise3d_cuda_backward_input_kernelIN3c104HalfEfLi3ELi3ELi3ELi1ELi1ELi1ELi1ELi1ELi1EEEvN5torch10headeronly6detail27GenericPackedTensorAccessorINS7_14TensorAccessorINS3_8ArrayRefIlEEKT_Lm4ENS6_16DefaultPtrTraitsEiEENS_6detail16IndexBoundsCheckILm5EiEESD_Lm5ESE_iEENS8_INS9_ISB_SC_Lm4ESE_iEESI_SC_Lm5ESE_iEESJ_iiiiiiiii,comdat
	.globl	_ZN2at6native12_GLOBAL__N_143conv_depthwise3d_cuda_backward_input_kernelIN3c104HalfEfLi3ELi3ELi3ELi1ELi1ELi1ELi1ELi1ELi1EEEvN5torch10headeronly6detail27GenericPackedTensorAccessorINS7_14TensorAccessorINS3_8ArrayRefIlEEKT_Lm4ENS6_16DefaultPtrTraitsEiEENS_6detail16IndexBoundsCheckILm5EiEESD_Lm5ESE_iEENS8_INS9_ISB_SC_Lm4ESE_iEESI_SC_Lm5ESE_iEESJ_iiiiiiiii ; -- Begin function _ZN2at6native12_GLOBAL__N_143conv_depthwise3d_cuda_backward_input_kernelIN3c104HalfEfLi3ELi3ELi3ELi1ELi1ELi1ELi1ELi1ELi1EEEvN5torch10headeronly6detail27GenericPackedTensorAccessorINS7_14TensorAccessorINS3_8ArrayRefIlEEKT_Lm4ENS6_16DefaultPtrTraitsEiEENS_6detail16IndexBoundsCheckILm5EiEESD_Lm5ESE_iEENS8_INS9_ISB_SC_Lm4ESE_iEESI_SC_Lm5ESE_iEESJ_iiiiiiiii
	.p2align	8
	.type	_ZN2at6native12_GLOBAL__N_143conv_depthwise3d_cuda_backward_input_kernelIN3c104HalfEfLi3ELi3ELi3ELi1ELi1ELi1ELi1ELi1ELi1EEEvN5torch10headeronly6detail27GenericPackedTensorAccessorINS7_14TensorAccessorINS3_8ArrayRefIlEEKT_Lm4ENS6_16DefaultPtrTraitsEiEENS_6detail16IndexBoundsCheckILm5EiEESD_Lm5ESE_iEENS8_INS9_ISB_SC_Lm4ESE_iEESI_SC_Lm5ESE_iEESJ_iiiiiiiii,@function
_ZN2at6native12_GLOBAL__N_143conv_depthwise3d_cuda_backward_input_kernelIN3c104HalfEfLi3ELi3ELi3ELi1ELi1ELi1ELi1ELi1ELi1EEEvN5torch10headeronly6detail27GenericPackedTensorAccessorINS7_14TensorAccessorINS3_8ArrayRefIlEEKT_Lm4ENS6_16DefaultPtrTraitsEiEENS_6detail16IndexBoundsCheckILm5EiEESD_Lm5ESE_iEENS8_INS9_ISB_SC_Lm4ESE_iEESI_SC_Lm5ESE_iEESJ_iiiiiiiii: ; @_ZN2at6native12_GLOBAL__N_143conv_depthwise3d_cuda_backward_input_kernelIN3c104HalfEfLi3ELi3ELi3ELi1ELi1ELi1ELi1ELi1ELi1EEEvN5torch10headeronly6detail27GenericPackedTensorAccessorINS7_14TensorAccessorINS3_8ArrayRefIlEEKT_Lm4ENS6_16DefaultPtrTraitsEiEENS_6detail16IndexBoundsCheckILm5EiEESD_Lm5ESE_iEENS8_INS9_ISB_SC_Lm4ESE_iEESI_SC_Lm5ESE_iEESJ_iiiiiiiii
; %bb.0:
	s_load_dwordx4 s[12:15], s[0:1], 0x38
	s_load_dwordx2 s[28:29], s[0:1], 0x48
	s_load_dword s4, s[0:1], 0xc4
	v_mov_b32_e32 v3, s2
	v_mov_b32_e32 v1, 0
	s_waitcnt lgkmcnt(0)
	s_abs_i32 s33, s13
	v_cvt_f32_u32_e32 v2, s33
	s_add_u32 s2, s0, 0xb8
	s_mul_i32 s30, s29, s12
	s_addc_u32 s3, s1, 0
	v_rcp_iflag_f32_e32 v2, v2
	s_and_b32 s4, s4, 0xffff
	s_ashr_i32 s31, s30, 31
	v_mad_u64_u32 v[0:1], s[6:7], s4, v3, v[0:1]
	v_mul_f32_e32 v2, 0x4f7ffffe, v2
	v_cvt_u32_f32_e32 v2, v2
	v_cmp_gt_i64_e32 vcc, s[30:31], v[0:1]
	v_readfirstlane_b32 s5, v2
	s_and_saveexec_b64 s[6:7], vcc
	s_cbranch_execz .LBB22_62
; %bb.1:
	s_load_dwordx4 s[16:19], s[0:1], 0xc
	s_load_dwordx2 s[6:7], s[0:1], 0x0
	s_sub_i32 s8, 0, s33
                                        ; implicit-def: $vgpr127 : SGPR spill to VGPR lane
	s_mul_i32 s9, s8, s5
	s_mul_hi_u32 s9, s5, s9
	s_add_i32 s5, s5, s9
	s_waitcnt lgkmcnt(0)
	v_writelane_b32 v127, s6, 0
	s_ashr_i32 s12, s13, 31
	s_load_dwordx4 s[20:23], s[0:1], 0x9c
	v_writelane_b32 v127, s7, 1
	s_abs_i32 s7, s16
	s_mul_hi_u32 s5, s7, s5
	s_mul_i32 s9, s5, s33
	s_ashr_i32 s6, s16, 31
	s_sub_i32 s7, s7, s9
	s_xor_b32 s6, s6, s12
	s_add_i32 s9, s5, 1
	s_sub_i32 s10, s7, s33
	s_cmp_ge_u32 s7, s33
	s_cselect_b32 s5, s9, s5
	s_cselect_b32 s7, s10, s7
	s_add_i32 s9, s5, 1
	s_cmp_ge_u32 s7, s33
	s_cselect_b32 s5, s9, s5
	s_xor_b32 s5, s5, s6
	s_sub_i32 s16, s5, s6
	s_cmp_gt_i32 s16, 0
	s_load_dword s5, s[2:3], 0x0
	s_cselect_b64 s[2:3], -1, 0
	s_abs_i32 s94, s28
	v_cvt_f32_u32_e32 v3, s94
	s_waitcnt lgkmcnt(0)
	s_load_dword s23, s[0:1], 0x7c
	s_load_dwordx2 s[38:39], s[0:1], 0x1c
	s_load_dwordx2 s[40:41], s[0:1], 0x30
	;; [unrolled: 1-line block ×3, first 2 shown]
	s_load_dwordx4 s[24:27], s[0:1], 0x50
	s_abs_i32 s96, s15
	v_rcp_iflag_f32_e32 v3, v3
	s_sub_i32 s0, 0, s94
	v_cvt_f32_u32_e32 v4, s96
	s_abs_i32 s97, s14
	v_mul_f32_e32 v3, 0x4f7ffffe, v3
	v_cvt_u32_f32_e32 v3, v3
	v_rcp_iflag_f32_e32 v4, v4
	s_mov_b32 s35, 0
	s_mul_i32 s34, s5, s4
	v_mul_lo_u32 v5, s0, v3
	v_mul_hi_u32 v5, v3, v5
	v_add_u32_e32 v3, v3, v5
	scratch_store_dword off, v3, off        ; 4-byte Folded Spill
	v_cvt_f32_u32_e32 v3, s97
	v_mul_f32_e32 v4, 0x4f7ffffe, v4
	v_cvt_u32_f32_e32 v4, v4
	s_sub_i32 s0, 0, s96
	v_rcp_iflag_f32_e32 v3, v3
	s_ashr_i32 s95, s28, 31
	v_mul_lo_u32 v5, s0, v4
	v_mul_hi_u32 v5, v4, v5
	v_mul_f32_e32 v3, 0x4f7ffffe, v3
	v_cvt_u32_f32_e32 v3, v3
	v_add_u32_e32 v4, v4, v5
	s_sub_i32 s0, 0, s97
	scratch_store_dword off, v4, off offset:4 ; 4-byte Folded Spill
	v_mul_lo_u32 v4, s0, v3
	v_mul_hi_u32 v4, v3, v4
	v_add_u32_e32 v66, v3, v4
	v_mul_lo_u32 v3, s8, v2
	v_mul_hi_u32 v3, v2, v3
	v_add_u32_e32 v67, v2, v3
	v_cndmask_b32_e64 v2, 0, 1, s[2:3]
	s_ashr_i32 s98, s15, 31
	s_ashr_i32 s99, s14, 31
	s_mov_b64 s[44:45], 0
	v_cmp_ne_u32_e64 s[0:1], 1, v2
	s_branch .LBB22_4
.LBB22_2:                               ;   in Loop: Header=BB22_4 Depth=1
	s_or_b64 exec, exec, s[90:91]
	v_cvt_f16_f32_e32 v2, v75
.LBB22_3:                               ;   in Loop: Header=BB22_4 Depth=1
	v_mul_lo_u32 v4, v72, s29
	v_ashrrev_i32_e32 v5, 31, v4
	s_waitcnt lgkmcnt(0)
	v_mul_lo_u32 v6, s24, v71
	v_lshl_add_u64 v[4:5], v[4:5], 1, s[40:41]
	v_ashrrev_i32_e32 v7, 31, v6
	v_lshl_add_u64 v[4:5], v[6:7], 1, v[4:5]
	v_mul_lo_u32 v6, s25, v70
	v_ashrrev_i32_e32 v7, 31, v6
	v_lshl_add_u64 v[4:5], v[6:7], 1, v[4:5]
	v_mul_lo_u32 v6, s26, v69
	;; [unrolled: 3-line block ×3, first 2 shown]
	v_lshl_add_u64 v[0:1], v[0:1], 0, s[34:35]
	v_ashrrev_i32_e32 v7, 31, v6
	v_cmp_le_i64_e32 vcc, s[30:31], v[0:1]
	v_lshl_add_u64 v[4:5], v[6:7], 1, v[4:5]
	s_or_b64 s[44:45], vcc, s[44:45]
	global_store_short v[4:5], v2, off
	s_andn2_b64 exec, exec, s[44:45]
	s_cbranch_execz .LBB22_62
.LBB22_4:                               ; =>This Loop Header: Depth=1
                                        ;     Child Loop BB22_7 Depth 2
	scratch_load_dword v4, off, off         ; 4-byte Folded Reload
	v_sub_u32_e32 v3, 0, v0
	v_max_i32_e32 v3, v0, v3
	v_ashrrev_i32_e32 v2, 31, v0
	v_xor_b32_e32 v2, s95, v2
	s_waitcnt vmcnt(0)
	v_mul_hi_u32 v4, v3, v4
	v_mul_lo_u32 v5, v4, s94
	v_sub_u32_e32 v3, v3, v5
	v_add_u32_e32 v5, 1, v4
	v_cmp_le_u32_e32 vcc, s94, v3
	s_nop 1
	v_cndmask_b32_e32 v4, v4, v5, vcc
	v_subrev_u32_e32 v5, s94, v3
	v_cndmask_b32_e32 v3, v3, v5, vcc
	v_add_u32_e32 v5, 1, v4
	v_cmp_le_u32_e32 vcc, s94, v3
	s_nop 1
	v_cndmask_b32_e32 v3, v4, v5, vcc
	scratch_load_dword v5, off, off offset:4 ; 4-byte Folded Reload
	v_xor_b32_e32 v3, v3, v2
	v_sub_u32_e32 v2, v3, v2
	v_sub_u32_e32 v4, 0, v2
	v_max_i32_e32 v4, v2, v4
	v_mul_lo_u32 v3, v2, s28
	v_sub_u32_e32 v68, v0, v3
	v_ashrrev_i32_e32 v3, 31, v2
	v_xor_b32_e32 v3, s98, v3
	s_waitcnt vmcnt(0)
	v_mul_hi_u32 v5, v4, v5
	v_mul_lo_u32 v6, v5, s96
	v_sub_u32_e32 v4, v4, v6
	v_add_u32_e32 v6, 1, v5
	v_cmp_le_u32_e32 vcc, s96, v4
	s_nop 1
	v_cndmask_b32_e32 v5, v5, v6, vcc
	v_subrev_u32_e32 v6, s96, v4
	v_cndmask_b32_e32 v4, v4, v6, vcc
	v_add_u32_e32 v6, 1, v5
	v_cmp_le_u32_e32 vcc, s96, v4
	s_nop 1
	v_cndmask_b32_e32 v4, v5, v6, vcc
	v_xor_b32_e32 v4, v4, v3
	v_sub_u32_e32 v3, v4, v3
	v_mul_lo_u32 v4, v3, s15
	v_sub_u32_e32 v69, v2, v4
	v_sub_u32_e32 v4, 0, v3
	v_max_i32_e32 v4, v3, v4
	v_mul_hi_u32 v5, v4, v66
	v_mul_lo_u32 v6, v5, s97
	v_sub_u32_e32 v4, v4, v6
	v_add_u32_e32 v6, 1, v5
	v_cmp_le_u32_e32 vcc, s97, v4
	v_ashrrev_i32_e32 v2, 31, v3
	v_xor_b32_e32 v2, s99, v2
	v_cndmask_b32_e32 v5, v5, v6, vcc
	v_subrev_u32_e32 v6, s97, v4
	v_cndmask_b32_e32 v4, v4, v6, vcc
	v_add_u32_e32 v6, 1, v5
	v_cmp_le_u32_e32 vcc, s97, v4
	s_nop 1
	v_cndmask_b32_e32 v4, v5, v6, vcc
	v_xor_b32_e32 v4, v4, v2
	v_sub_u32_e32 v2, v4, v2
	v_mul_lo_u32 v4, v2, s14
	v_sub_u32_e32 v70, v3, v4
	v_sub_u32_e32 v4, 0, v2
	v_max_i32_e32 v4, v2, v4
	v_mul_hi_u32 v5, v4, v67
	v_mul_lo_u32 v6, v5, s33
	v_sub_u32_e32 v4, v4, v6
	v_add_u32_e32 v6, 1, v5
	v_cmp_le_u32_e32 vcc, s33, v4
	v_ashrrev_i32_e32 v3, 31, v2
	v_xor_b32_e32 v3, s12, v3
	v_cndmask_b32_e32 v5, v5, v6, vcc
	v_subrev_u32_e32 v6, s33, v4
	v_cndmask_b32_e32 v4, v4, v6, vcc
	v_add_u32_e32 v6, 1, v5
	v_cmp_le_u32_e32 vcc, s33, v4
	s_nop 1
	v_cndmask_b32_e32 v4, v5, v6, vcc
	v_xor_b32_e32 v4, v4, v3
	v_sub_u32_e32 v72, v4, v3
	v_mul_lo_u32 v3, v72, s13
	s_and_b64 vcc, exec, s[0:1]
	v_sub_u32_e32 v71, v2, v3
	s_cbranch_vccnz .LBB22_61
; %bb.5:                                ;   in Loop: Header=BB22_4 Depth=1
	v_add_u32_e32 v5, s20, v70
	v_add_u32_e32 v7, s21, v69
	v_mul_lo_u32 v9, v5, s18
	v_add_u32_e32 v54, s22, v68
	v_add_u32_e32 v2, v7, v9
	v_mul_lo_u32 v6, v2, s19
	v_or_b32_e32 v2, v54, v7
	v_add_u32_e32 v15, -2, v5
	v_add_u32_e32 v19, -1, v5
	v_cmp_gt_i32_e64 s[2:3], s18, v7
	v_or_b32_e32 v17, v2, v15
	v_or_b32_e32 v20, v2, v19
	;; [unrolled: 1-line block ×3, first 2 shown]
	v_cmp_gt_i32_e64 s[6:7], s19, v54
	v_add_u32_e32 v56, -1, v54
	v_cmp_lt_i32_e64 s[4:5], -1, v2
	s_and_b64 s[76:77], s[6:7], s[2:3]
	v_or_b32_e32 v4, v56, v7
	v_cmp_gt_i32_e32 vcc, s17, v5
	s_and_b64 s[4:5], s[76:77], s[4:5]
	v_or_b32_e32 v21, v4, v15
	v_or_b32_e32 v22, v4, v19
	;; [unrolled: 1-line block ×3, first 2 shown]
	v_cmp_gt_i32_e64 s[8:9], s19, v56
	v_add_u32_e32 v58, -2, v54
	s_and_b64 s[46:47], s[4:5], vcc
	v_cmp_lt_i32_e64 s[4:5], -1, v4
	s_and_b64 s[78:79], s[8:9], s[2:3]
	v_or_b32_e32 v14, v58, v7
	s_and_b64 s[4:5], s[78:79], s[4:5]
	v_or_b32_e32 v23, v14, v15
	v_or_b32_e32 v24, v14, v19
	;; [unrolled: 1-line block ×3, first 2 shown]
	v_cmp_gt_i32_e64 s[10:11], s19, v58
	v_add_u32_e32 v13, -1, v7
	s_and_b64 s[48:49], s[4:5], vcc
	v_cmp_lt_i32_e64 s[4:5], -1, v14
	s_and_b64 s[80:81], s[10:11], s[2:3]
	v_or_b32_e32 v8, v54, v13
	s_and_b64 s[2:3], s[80:81], s[4:5]
	s_and_b64 s[50:51], s[2:3], vcc
	v_cmp_gt_i32_e64 s[2:3], s18, v13
	v_or_b32_e32 v25, v8, v15
	v_or_b32_e32 v26, v8, v19
	;; [unrolled: 1-line block ×4, first 2 shown]
	v_cmp_lt_i32_e64 s[4:5], -1, v8
	s_and_b64 s[84:85], s[6:7], s[2:3]
	s_and_b64 s[4:5], s[84:85], s[4:5]
	v_or_b32_e32 v27, v10, v15
	v_or_b32_e32 v28, v10, v19
	;; [unrolled: 1-line block ×4, first 2 shown]
	s_and_b64 s[52:53], s[4:5], vcc
	v_cmp_lt_i32_e64 s[4:5], -1, v10
	s_and_b64 s[86:87], s[8:9], s[2:3]
	s_and_b64 s[4:5], s[86:87], s[4:5]
	v_or_b32_e32 v29, v12, v15
	v_or_b32_e32 v30, v12, v19
	;; [unrolled: 1-line block ×3, first 2 shown]
	v_add_u32_e32 v3, -2, v7
	s_and_b64 s[54:55], s[4:5], vcc
	v_cmp_lt_i32_e64 s[4:5], -1, v12
	s_and_b64 s[82:83], s[10:11], s[2:3]
	v_or_b32_e32 v11, v54, v3
	s_and_b64 s[2:3], s[82:83], s[4:5]
	s_and_b64 s[56:57], s[2:3], vcc
	v_cmp_gt_i32_e64 s[2:3], s18, v3
	v_or_b32_e32 v33, v11, v15
	v_or_b32_e32 v32, v11, v19
	;; [unrolled: 1-line block ×4, first 2 shown]
	v_cmp_lt_i32_e64 s[4:5], -1, v11
	s_and_b64 s[88:89], s[6:7], s[2:3]
	s_and_b64 s[4:5], s[88:89], s[4:5]
	v_or_b32_e32 v11, v16, v15
	v_or_b32_e32 v34, v16, v19
	;; [unrolled: 1-line block ×4, first 2 shown]
	s_and_b64 s[6:7], s[4:5], vcc
	v_cmp_lt_i32_e64 s[4:5], -1, v16
	s_and_b64 s[90:91], s[8:9], s[2:3]
	s_and_b64 s[4:5], s[90:91], s[4:5]
	v_or_b32_e32 v5, v18, v5
	s_and_b64 s[8:9], s[4:5], vcc
	v_cmp_lt_i32_e64 s[4:5], -1, v5
	s_and_b64 s[92:93], s[10:11], s[2:3]
	s_and_b64 s[2:3], s[92:93], s[4:5]
	s_and_b64 s[10:11], s[2:3], vcc
	v_cmp_lt_i32_e64 s[2:3], -1, v20
	v_cmp_gt_i32_e32 vcc, s17, v19
	s_and_b64 s[2:3], s[76:77], s[2:3]
	s_and_b64 s[58:59], s[2:3], vcc
	v_cmp_lt_i32_e64 s[2:3], -1, v22
	s_and_b64 s[2:3], s[78:79], s[2:3]
	s_and_b64 s[60:61], s[2:3], vcc
	v_cmp_lt_i32_e64 s[2:3], -1, v24
	;; [unrolled: 3-line block ×6, first 2 shown]
	s_and_b64 s[2:3], s[88:89], s[2:3]
	v_or_b32_e32 v36, v18, v19
	s_and_b64 s[70:71], s[2:3], vcc
	v_cmp_lt_i32_e64 s[2:3], -1, v34
	v_add_u32_e32 v14, v13, v9
	v_cmp_lt_i32_e64 s[4:5], -1, v36
	s_and_b64 s[2:3], s[90:91], s[2:3]
	v_mul_lo_u32 v14, v14, s19
	v_subrev_u32_e32 v5, s18, v9
	s_and_b64 s[72:73], s[2:3], vcc
	s_and_b64 s[2:3], s[92:93], s[4:5]
	v_add_u32_e32 v8, v54, v14
	v_add_u32_e32 v10, v56, v14
	v_add_u32_e32 v12, v58, v14
	v_add_u32_e32 v14, v3, v9
	v_add_u32_e32 v9, v7, v5
	s_and_b64 s[74:75], s[2:3], vcc
	v_cmp_lt_i32_e64 s[2:3], -1, v17
	v_mul_lo_u32 v9, v9, s19
	s_and_b64 s[76:77], s[76:77], s[2:3]
	v_cmp_lt_i32_e64 s[2:3], -1, v21
	v_add_u32_e32 v20, v54, v9
	v_add_u32_e32 v22, v56, v9
	;; [unrolled: 1-line block ×4, first 2 shown]
	s_and_b64 s[78:79], s[78:79], s[2:3]
	v_cmp_lt_i32_e64 s[2:3], -1, v23
	v_mul_lo_u32 v9, v9, s19
	s_and_b64 s[80:81], s[80:81], s[2:3]
	v_cmp_lt_i32_e64 s[2:3], -1, v25
	v_add_u32_e32 v26, v54, v9
	v_add_u32_e32 v28, v56, v9
	;; [unrolled: 1-line block ×4, first 2 shown]
	s_and_b64 s[84:85], s[84:85], s[2:3]
	v_cmp_lt_i32_e64 s[2:3], -1, v27
	v_mul_lo_u32 v9, v9, s19
	v_subrev_u32_e32 v5, s18, v5
	s_and_b64 s[86:87], s[86:87], s[2:3]
	v_cmp_lt_i32_e64 s[2:3], -1, v29
	v_mul_lo_u32 v73, v71, s16
	s_waitcnt lgkmcnt(0)
	v_mul_lo_u32 v50, s38, v72
	v_or_b32_e32 v35, v18, v15
	v_add_u32_e32 v32, v54, v9
	v_add_u32_e32 v34, v56, v9
	;; [unrolled: 1-line block ×6, first 2 shown]
	s_and_b64 s[36:37], s[82:83], s[2:3]
	v_cmp_lt_i32_e64 s[2:3], -1, v33
	v_readlane_b32 s82, v127, 0
	v_mul_lo_u32 v48, s23, v73
	v_mul_lo_u32 v31, v14, s19
	v_cmp_gt_i32_e32 vcc, s17, v15
	v_mul_lo_u32 v7, v7, s19
	v_mul_lo_u32 v52, v9, s19
	s_and_b64 s[88:89], s[88:89], s[2:3]
	v_cmp_lt_i32_e64 s[2:3], -1, v11
	v_cmp_lt_i32_e64 s[4:5], -1, v35
	v_ashrrev_i32_e32 v51, 31, v50
	v_readlane_b32 s83, v127, 1
	v_mul_lo_u32 v59, v55, s19
	v_add_u32_e32 v2, v54, v6
	v_add_u32_e32 v4, v56, v6
	;; [unrolled: 1-line block ×11, first 2 shown]
	v_ashrrev_i32_e32 v49, 31, v48
	v_lshl_add_u64 v[50:51], v[50:51], 1, s[82:83]
	s_and_b64 s[82:83], s[84:85], vcc
	s_and_b64 s[84:85], s[86:87], vcc
	;; [unrolled: 1-line block ×3, first 2 shown]
	v_add_u32_e32 v52, v58, v52
	v_add_u32_e32 v54, v54, v59
	s_and_b64 s[2:3], s[90:91], s[2:3]
	v_add_u32_e32 v56, v56, v59
	s_and_b64 s[4:5], s[92:93], s[4:5]
	v_add_u32_e32 v58, v58, v59
	s_mul_i32 s36, s39, s16
	v_lshl_add_u64 v[48:49], v[48:49], 1, s[42:43]
	v_ashrrev_i32_e32 v3, 31, v2
	v_ashrrev_i32_e32 v5, 31, v4
	;; [unrolled: 1-line block ×18, first 2 shown]
	s_and_b64 s[76:77], s[76:77], vcc
	v_ashrrev_i32_e32 v39, 31, v38
	s_and_b64 s[78:79], s[78:79], vcc
	v_ashrrev_i32_e32 v41, 31, v40
	;; [unrolled: 2-line block ×3, first 2 shown]
	v_ashrrev_i32_e32 v45, 31, v44
	v_ashrrev_i32_e32 v47, 31, v46
	;; [unrolled: 1-line block ×3, first 2 shown]
	s_and_b64 s[88:89], s[88:89], vcc
	v_ashrrev_i32_e32 v55, 31, v54
	s_and_b64 s[2:3], s[2:3], vcc
	v_ashrrev_i32_e32 v57, 31, v56
	;; [unrolled: 2-line block ×3, first 2 shown]
	s_mov_b64 s[90:91], 0
	v_add_u32_e32 v74, s16, v73
	v_mov_b32_e32 v75, 0
	v_mul_lo_u32 v60, s36, v71
	s_branch .LBB22_7
.LBB22_6:                               ;   in Loop: Header=BB22_7 Depth=2
	s_or_b64 exec, exec, s[92:93]
	s_waitcnt vmcnt(26)
	v_fma_mix_f32 v61, v61, v76, v75 op_sel_hi:[0,1,0]
	s_waitcnt vmcnt(25)
	v_fma_mix_f32 v61, v79, v77, v61 op_sel_hi:[0,1,0]
	;; [unrolled: 2-line block ×25, first 2 shown]
	v_add_u32_e32 v73, 1, v73
	s_waitcnt vmcnt(1)
	v_fma_mix_f32 v61, v64, v125, v61 op_sel_hi:[0,1,0]
	v_cmp_ge_i32_e32 vcc, v73, v74
	s_waitcnt vmcnt(0)
	v_fma_mix_f32 v75, v126, v65, v61 op_sel_hi:[0,1,0]
	v_lshl_add_u64 v[48:49], v[48:49], 0, 54
	s_or_b64 s[90:91], vcc, s[90:91]
	v_add_u32_e32 v60, s39, v60
	s_andn2_b64 exec, exec, s[90:91]
	s_cbranch_execz .LBB22_2
.LBB22_7:                               ;   Parent Loop BB22_4 Depth=1
                                        ; =>  This Inner Loop Header: Depth=2
	global_load_ushort v76, v[48:49], off
	v_ashrrev_i32_e32 v61, 31, v60
	v_lshl_add_u64 v[62:63], v[60:61], 1, v[50:51]
	v_mov_b32_e32 v61, 0
	s_and_saveexec_b64 s[92:93], s[46:47]
	s_cbranch_execz .LBB22_9
; %bb.8:                                ;   in Loop: Header=BB22_7 Depth=2
	v_lshl_add_u64 v[64:65], v[2:3], 1, v[62:63]
	global_load_ushort v61, v[64:65], off
	s_waitcnt vmcnt(0)
	v_cvt_f32_f16_e32 v61, v61
.LBB22_9:                               ;   in Loop: Header=BB22_7 Depth=2
	s_or_b64 exec, exec, s[92:93]
	global_load_ushort v77, v[48:49], off offset:2
	v_mov_b32_e32 v78, 0
	v_mov_b32_e32 v79, 0
	s_and_saveexec_b64 s[92:93], s[48:49]
	s_cbranch_execz .LBB22_11
; %bb.10:                               ;   in Loop: Header=BB22_7 Depth=2
	v_lshl_add_u64 v[64:65], v[4:5], 1, v[62:63]
	global_load_ushort v64, v[64:65], off
	s_waitcnt vmcnt(0)
	v_cvt_f32_f16_e32 v79, v64
.LBB22_11:                              ;   in Loop: Header=BB22_7 Depth=2
	s_or_b64 exec, exec, s[92:93]
	global_load_ushort v80, v[48:49], off offset:4
	s_and_saveexec_b64 s[92:93], s[50:51]
	s_cbranch_execz .LBB22_13
; %bb.12:                               ;   in Loop: Header=BB22_7 Depth=2
	v_lshl_add_u64 v[64:65], v[6:7], 1, v[62:63]
	global_load_ushort v64, v[64:65], off
	s_waitcnt vmcnt(0)
	v_cvt_f32_f16_e32 v78, v64
.LBB22_13:                              ;   in Loop: Header=BB22_7 Depth=2
	s_or_b64 exec, exec, s[92:93]
	global_load_ushort v81, v[48:49], off offset:6
	v_mov_b32_e32 v82, 0
	v_mov_b32_e32 v83, 0
	s_and_saveexec_b64 s[92:93], s[52:53]
	s_cbranch_execz .LBB22_15
; %bb.14:                               ;   in Loop: Header=BB22_7 Depth=2
	v_lshl_add_u64 v[64:65], v[8:9], 1, v[62:63]
	global_load_ushort v64, v[64:65], off
	s_waitcnt vmcnt(0)
	v_cvt_f32_f16_e32 v83, v64
.LBB22_15:                              ;   in Loop: Header=BB22_7 Depth=2
	s_or_b64 exec, exec, s[92:93]
	global_load_ushort v84, v[48:49], off offset:8
	s_and_saveexec_b64 s[92:93], s[54:55]
	s_cbranch_execz .LBB22_17
; %bb.16:                               ;   in Loop: Header=BB22_7 Depth=2
	v_lshl_add_u64 v[64:65], v[10:11], 1, v[62:63]
	global_load_ushort v64, v[64:65], off
	s_waitcnt vmcnt(0)
	v_cvt_f32_f16_e32 v82, v64
.LBB22_17:                              ;   in Loop: Header=BB22_7 Depth=2
	;; [unrolled: 22-line block ×12, first 2 shown]
	s_or_b64 exec, exec, s[92:93]
	global_load_ushort v125, v[48:49], off offset:50
	v_mov_b32_e32 v126, 0
	v_mov_b32_e32 v64, 0
	s_and_saveexec_b64 s[92:93], s[2:3]
	s_cbranch_execz .LBB22_59
; %bb.58:                               ;   in Loop: Header=BB22_7 Depth=2
	v_lshl_add_u64 v[64:65], v[56:57], 1, v[62:63]
	global_load_ushort v64, v[64:65], off
	s_waitcnt vmcnt(0)
	v_cvt_f32_f16_e32 v64, v64
.LBB22_59:                              ;   in Loop: Header=BB22_7 Depth=2
	s_or_b64 exec, exec, s[92:93]
	global_load_ushort v65, v[48:49], off offset:52
	s_and_saveexec_b64 s[92:93], s[4:5]
	s_cbranch_execz .LBB22_6
; %bb.60:                               ;   in Loop: Header=BB22_7 Depth=2
	v_lshl_add_u64 v[62:63], v[58:59], 1, v[62:63]
	global_load_ushort v62, v[62:63], off
	s_waitcnt vmcnt(0)
	v_cvt_f32_f16_e32 v126, v62
	s_branch .LBB22_6
.LBB22_61:                              ;   in Loop: Header=BB22_4 Depth=1
	v_mov_b32_e32 v2, 0
	s_branch .LBB22_3
.LBB22_62:
	s_endpgm
	.section	.rodata,"a",@progbits
	.p2align	6, 0x0
	.amdhsa_kernel _ZN2at6native12_GLOBAL__N_143conv_depthwise3d_cuda_backward_input_kernelIN3c104HalfEfLi3ELi3ELi3ELi1ELi1ELi1ELi1ELi1ELi1EEEvN5torch10headeronly6detail27GenericPackedTensorAccessorINS7_14TensorAccessorINS3_8ArrayRefIlEEKT_Lm4ENS6_16DefaultPtrTraitsEiEENS_6detail16IndexBoundsCheckILm5EiEESD_Lm5ESE_iEENS8_INS9_ISB_SC_Lm4ESE_iEESI_SC_Lm5ESE_iEESJ_iiiiiiiii
		.amdhsa_group_segment_fixed_size 0
		.amdhsa_private_segment_fixed_size 12
		.amdhsa_kernarg_size 440
		.amdhsa_user_sgpr_count 2
		.amdhsa_user_sgpr_dispatch_ptr 0
		.amdhsa_user_sgpr_queue_ptr 0
		.amdhsa_user_sgpr_kernarg_segment_ptr 1
		.amdhsa_user_sgpr_dispatch_id 0
		.amdhsa_user_sgpr_kernarg_preload_length 0
		.amdhsa_user_sgpr_kernarg_preload_offset 0
		.amdhsa_user_sgpr_private_segment_size 0
		.amdhsa_uses_dynamic_stack 0
		.amdhsa_enable_private_segment 1
		.amdhsa_system_sgpr_workgroup_id_x 1
		.amdhsa_system_sgpr_workgroup_id_y 0
		.amdhsa_system_sgpr_workgroup_id_z 0
		.amdhsa_system_sgpr_workgroup_info 0
		.amdhsa_system_vgpr_workitem_id 0
		.amdhsa_next_free_vgpr 128
		.amdhsa_next_free_sgpr 100
		.amdhsa_accum_offset 128
		.amdhsa_reserve_vcc 1
		.amdhsa_float_round_mode_32 0
		.amdhsa_float_round_mode_16_64 0
		.amdhsa_float_denorm_mode_32 3
		.amdhsa_float_denorm_mode_16_64 3
		.amdhsa_dx10_clamp 1
		.amdhsa_ieee_mode 1
		.amdhsa_fp16_overflow 0
		.amdhsa_tg_split 0
		.amdhsa_exception_fp_ieee_invalid_op 0
		.amdhsa_exception_fp_denorm_src 0
		.amdhsa_exception_fp_ieee_div_zero 0
		.amdhsa_exception_fp_ieee_overflow 0
		.amdhsa_exception_fp_ieee_underflow 0
		.amdhsa_exception_fp_ieee_inexact 0
		.amdhsa_exception_int_div_zero 0
	.end_amdhsa_kernel
	.section	.text._ZN2at6native12_GLOBAL__N_143conv_depthwise3d_cuda_backward_input_kernelIN3c104HalfEfLi3ELi3ELi3ELi1ELi1ELi1ELi1ELi1ELi1EEEvN5torch10headeronly6detail27GenericPackedTensorAccessorINS7_14TensorAccessorINS3_8ArrayRefIlEEKT_Lm4ENS6_16DefaultPtrTraitsEiEENS_6detail16IndexBoundsCheckILm5EiEESD_Lm5ESE_iEENS8_INS9_ISB_SC_Lm4ESE_iEESI_SC_Lm5ESE_iEESJ_iiiiiiiii,"axG",@progbits,_ZN2at6native12_GLOBAL__N_143conv_depthwise3d_cuda_backward_input_kernelIN3c104HalfEfLi3ELi3ELi3ELi1ELi1ELi1ELi1ELi1ELi1EEEvN5torch10headeronly6detail27GenericPackedTensorAccessorINS7_14TensorAccessorINS3_8ArrayRefIlEEKT_Lm4ENS6_16DefaultPtrTraitsEiEENS_6detail16IndexBoundsCheckILm5EiEESD_Lm5ESE_iEENS8_INS9_ISB_SC_Lm4ESE_iEESI_SC_Lm5ESE_iEESJ_iiiiiiiii,comdat
.Lfunc_end22:
	.size	_ZN2at6native12_GLOBAL__N_143conv_depthwise3d_cuda_backward_input_kernelIN3c104HalfEfLi3ELi3ELi3ELi1ELi1ELi1ELi1ELi1ELi1EEEvN5torch10headeronly6detail27GenericPackedTensorAccessorINS7_14TensorAccessorINS3_8ArrayRefIlEEKT_Lm4ENS6_16DefaultPtrTraitsEiEENS_6detail16IndexBoundsCheckILm5EiEESD_Lm5ESE_iEENS8_INS9_ISB_SC_Lm4ESE_iEESI_SC_Lm5ESE_iEESJ_iiiiiiiii, .Lfunc_end22-_ZN2at6native12_GLOBAL__N_143conv_depthwise3d_cuda_backward_input_kernelIN3c104HalfEfLi3ELi3ELi3ELi1ELi1ELi1ELi1ELi1ELi1EEEvN5torch10headeronly6detail27GenericPackedTensorAccessorINS7_14TensorAccessorINS3_8ArrayRefIlEEKT_Lm4ENS6_16DefaultPtrTraitsEiEENS_6detail16IndexBoundsCheckILm5EiEESD_Lm5ESE_iEENS8_INS9_ISB_SC_Lm4ESE_iEESI_SC_Lm5ESE_iEESJ_iiiiiiiii
                                        ; -- End function
	.set _ZN2at6native12_GLOBAL__N_143conv_depthwise3d_cuda_backward_input_kernelIN3c104HalfEfLi3ELi3ELi3ELi1ELi1ELi1ELi1ELi1ELi1EEEvN5torch10headeronly6detail27GenericPackedTensorAccessorINS7_14TensorAccessorINS3_8ArrayRefIlEEKT_Lm4ENS6_16DefaultPtrTraitsEiEENS_6detail16IndexBoundsCheckILm5EiEESD_Lm5ESE_iEENS8_INS9_ISB_SC_Lm4ESE_iEESI_SC_Lm5ESE_iEESJ_iiiiiiiii.num_vgpr, 128
	.set _ZN2at6native12_GLOBAL__N_143conv_depthwise3d_cuda_backward_input_kernelIN3c104HalfEfLi3ELi3ELi3ELi1ELi1ELi1ELi1ELi1ELi1EEEvN5torch10headeronly6detail27GenericPackedTensorAccessorINS7_14TensorAccessorINS3_8ArrayRefIlEEKT_Lm4ENS6_16DefaultPtrTraitsEiEENS_6detail16IndexBoundsCheckILm5EiEESD_Lm5ESE_iEENS8_INS9_ISB_SC_Lm4ESE_iEESI_SC_Lm5ESE_iEESJ_iiiiiiiii.num_agpr, 0
	.set _ZN2at6native12_GLOBAL__N_143conv_depthwise3d_cuda_backward_input_kernelIN3c104HalfEfLi3ELi3ELi3ELi1ELi1ELi1ELi1ELi1ELi1EEEvN5torch10headeronly6detail27GenericPackedTensorAccessorINS7_14TensorAccessorINS3_8ArrayRefIlEEKT_Lm4ENS6_16DefaultPtrTraitsEiEENS_6detail16IndexBoundsCheckILm5EiEESD_Lm5ESE_iEENS8_INS9_ISB_SC_Lm4ESE_iEESI_SC_Lm5ESE_iEESJ_iiiiiiiii.numbered_sgpr, 100
	.set _ZN2at6native12_GLOBAL__N_143conv_depthwise3d_cuda_backward_input_kernelIN3c104HalfEfLi3ELi3ELi3ELi1ELi1ELi1ELi1ELi1ELi1EEEvN5torch10headeronly6detail27GenericPackedTensorAccessorINS7_14TensorAccessorINS3_8ArrayRefIlEEKT_Lm4ENS6_16DefaultPtrTraitsEiEENS_6detail16IndexBoundsCheckILm5EiEESD_Lm5ESE_iEENS8_INS9_ISB_SC_Lm4ESE_iEESI_SC_Lm5ESE_iEESJ_iiiiiiiii.num_named_barrier, 0
	.set _ZN2at6native12_GLOBAL__N_143conv_depthwise3d_cuda_backward_input_kernelIN3c104HalfEfLi3ELi3ELi3ELi1ELi1ELi1ELi1ELi1ELi1EEEvN5torch10headeronly6detail27GenericPackedTensorAccessorINS7_14TensorAccessorINS3_8ArrayRefIlEEKT_Lm4ENS6_16DefaultPtrTraitsEiEENS_6detail16IndexBoundsCheckILm5EiEESD_Lm5ESE_iEENS8_INS9_ISB_SC_Lm4ESE_iEESI_SC_Lm5ESE_iEESJ_iiiiiiiii.private_seg_size, 12
	.set _ZN2at6native12_GLOBAL__N_143conv_depthwise3d_cuda_backward_input_kernelIN3c104HalfEfLi3ELi3ELi3ELi1ELi1ELi1ELi1ELi1ELi1EEEvN5torch10headeronly6detail27GenericPackedTensorAccessorINS7_14TensorAccessorINS3_8ArrayRefIlEEKT_Lm4ENS6_16DefaultPtrTraitsEiEENS_6detail16IndexBoundsCheckILm5EiEESD_Lm5ESE_iEENS8_INS9_ISB_SC_Lm4ESE_iEESI_SC_Lm5ESE_iEESJ_iiiiiiiii.uses_vcc, 1
	.set _ZN2at6native12_GLOBAL__N_143conv_depthwise3d_cuda_backward_input_kernelIN3c104HalfEfLi3ELi3ELi3ELi1ELi1ELi1ELi1ELi1ELi1EEEvN5torch10headeronly6detail27GenericPackedTensorAccessorINS7_14TensorAccessorINS3_8ArrayRefIlEEKT_Lm4ENS6_16DefaultPtrTraitsEiEENS_6detail16IndexBoundsCheckILm5EiEESD_Lm5ESE_iEENS8_INS9_ISB_SC_Lm4ESE_iEESI_SC_Lm5ESE_iEESJ_iiiiiiiii.uses_flat_scratch, 0
	.set _ZN2at6native12_GLOBAL__N_143conv_depthwise3d_cuda_backward_input_kernelIN3c104HalfEfLi3ELi3ELi3ELi1ELi1ELi1ELi1ELi1ELi1EEEvN5torch10headeronly6detail27GenericPackedTensorAccessorINS7_14TensorAccessorINS3_8ArrayRefIlEEKT_Lm4ENS6_16DefaultPtrTraitsEiEENS_6detail16IndexBoundsCheckILm5EiEESD_Lm5ESE_iEENS8_INS9_ISB_SC_Lm4ESE_iEESI_SC_Lm5ESE_iEESJ_iiiiiiiii.has_dyn_sized_stack, 0
	.set _ZN2at6native12_GLOBAL__N_143conv_depthwise3d_cuda_backward_input_kernelIN3c104HalfEfLi3ELi3ELi3ELi1ELi1ELi1ELi1ELi1ELi1EEEvN5torch10headeronly6detail27GenericPackedTensorAccessorINS7_14TensorAccessorINS3_8ArrayRefIlEEKT_Lm4ENS6_16DefaultPtrTraitsEiEENS_6detail16IndexBoundsCheckILm5EiEESD_Lm5ESE_iEENS8_INS9_ISB_SC_Lm4ESE_iEESI_SC_Lm5ESE_iEESJ_iiiiiiiii.has_recursion, 0
	.set _ZN2at6native12_GLOBAL__N_143conv_depthwise3d_cuda_backward_input_kernelIN3c104HalfEfLi3ELi3ELi3ELi1ELi1ELi1ELi1ELi1ELi1EEEvN5torch10headeronly6detail27GenericPackedTensorAccessorINS7_14TensorAccessorINS3_8ArrayRefIlEEKT_Lm4ENS6_16DefaultPtrTraitsEiEENS_6detail16IndexBoundsCheckILm5EiEESD_Lm5ESE_iEENS8_INS9_ISB_SC_Lm4ESE_iEESI_SC_Lm5ESE_iEESJ_iiiiiiiii.has_indirect_call, 0
	.section	.AMDGPU.csdata,"",@progbits
; Kernel info:
; codeLenInByte = 3900
; TotalNumSgprs: 106
; NumVgprs: 128
; NumAgprs: 0
; TotalNumVgprs: 128
; ScratchSize: 12
; MemoryBound: 0
; FloatMode: 240
; IeeeMode: 1
; LDSByteSize: 0 bytes/workgroup (compile time only)
; SGPRBlocks: 13
; VGPRBlocks: 15
; NumSGPRsForWavesPerEU: 106
; NumVGPRsForWavesPerEU: 128
; AccumOffset: 128
; Occupancy: 4
; WaveLimiterHint : 0
; COMPUTE_PGM_RSRC2:SCRATCH_EN: 1
; COMPUTE_PGM_RSRC2:USER_SGPR: 2
; COMPUTE_PGM_RSRC2:TRAP_HANDLER: 0
; COMPUTE_PGM_RSRC2:TGID_X_EN: 1
; COMPUTE_PGM_RSRC2:TGID_Y_EN: 0
; COMPUTE_PGM_RSRC2:TGID_Z_EN: 0
; COMPUTE_PGM_RSRC2:TIDIG_COMP_CNT: 0
; COMPUTE_PGM_RSRC3_GFX90A:ACCUM_OFFSET: 31
; COMPUTE_PGM_RSRC3_GFX90A:TG_SPLIT: 0
	.section	.text._ZN2at6native12_GLOBAL__N_143conv_depthwise3d_cuda_backward_input_kernelIN3c104HalfEfLi3ELi3ELi3ELi1ELi1ELi1ELin1ELin1ELin1EEEvN5torch10headeronly6detail27GenericPackedTensorAccessorINS7_14TensorAccessorINS3_8ArrayRefIlEEKT_Lm4ENS6_16DefaultPtrTraitsEiEENS_6detail16IndexBoundsCheckILm5EiEESD_Lm5ESE_iEENS8_INS9_ISB_SC_Lm4ESE_iEESI_SC_Lm5ESE_iEESJ_iiiiiiiii,"axG",@progbits,_ZN2at6native12_GLOBAL__N_143conv_depthwise3d_cuda_backward_input_kernelIN3c104HalfEfLi3ELi3ELi3ELi1ELi1ELi1ELin1ELin1ELin1EEEvN5torch10headeronly6detail27GenericPackedTensorAccessorINS7_14TensorAccessorINS3_8ArrayRefIlEEKT_Lm4ENS6_16DefaultPtrTraitsEiEENS_6detail16IndexBoundsCheckILm5EiEESD_Lm5ESE_iEENS8_INS9_ISB_SC_Lm4ESE_iEESI_SC_Lm5ESE_iEESJ_iiiiiiiii,comdat
	.globl	_ZN2at6native12_GLOBAL__N_143conv_depthwise3d_cuda_backward_input_kernelIN3c104HalfEfLi3ELi3ELi3ELi1ELi1ELi1ELin1ELin1ELin1EEEvN5torch10headeronly6detail27GenericPackedTensorAccessorINS7_14TensorAccessorINS3_8ArrayRefIlEEKT_Lm4ENS6_16DefaultPtrTraitsEiEENS_6detail16IndexBoundsCheckILm5EiEESD_Lm5ESE_iEENS8_INS9_ISB_SC_Lm4ESE_iEESI_SC_Lm5ESE_iEESJ_iiiiiiiii ; -- Begin function _ZN2at6native12_GLOBAL__N_143conv_depthwise3d_cuda_backward_input_kernelIN3c104HalfEfLi3ELi3ELi3ELi1ELi1ELi1ELin1ELin1ELin1EEEvN5torch10headeronly6detail27GenericPackedTensorAccessorINS7_14TensorAccessorINS3_8ArrayRefIlEEKT_Lm4ENS6_16DefaultPtrTraitsEiEENS_6detail16IndexBoundsCheckILm5EiEESD_Lm5ESE_iEENS8_INS9_ISB_SC_Lm4ESE_iEESI_SC_Lm5ESE_iEESJ_iiiiiiiii
	.p2align	8
	.type	_ZN2at6native12_GLOBAL__N_143conv_depthwise3d_cuda_backward_input_kernelIN3c104HalfEfLi3ELi3ELi3ELi1ELi1ELi1ELin1ELin1ELin1EEEvN5torch10headeronly6detail27GenericPackedTensorAccessorINS7_14TensorAccessorINS3_8ArrayRefIlEEKT_Lm4ENS6_16DefaultPtrTraitsEiEENS_6detail16IndexBoundsCheckILm5EiEESD_Lm5ESE_iEENS8_INS9_ISB_SC_Lm4ESE_iEESI_SC_Lm5ESE_iEESJ_iiiiiiiii,@function
_ZN2at6native12_GLOBAL__N_143conv_depthwise3d_cuda_backward_input_kernelIN3c104HalfEfLi3ELi3ELi3ELi1ELi1ELi1ELin1ELin1ELin1EEEvN5torch10headeronly6detail27GenericPackedTensorAccessorINS7_14TensorAccessorINS3_8ArrayRefIlEEKT_Lm4ENS6_16DefaultPtrTraitsEiEENS_6detail16IndexBoundsCheckILm5EiEESD_Lm5ESE_iEENS8_INS9_ISB_SC_Lm4ESE_iEESI_SC_Lm5ESE_iEESJ_iiiiiiiii: ; @_ZN2at6native12_GLOBAL__N_143conv_depthwise3d_cuda_backward_input_kernelIN3c104HalfEfLi3ELi3ELi3ELi1ELi1ELi1ELin1ELin1ELin1EEEvN5torch10headeronly6detail27GenericPackedTensorAccessorINS7_14TensorAccessorINS3_8ArrayRefIlEEKT_Lm4ENS6_16DefaultPtrTraitsEiEENS_6detail16IndexBoundsCheckILm5EiEESD_Lm5ESE_iEENS8_INS9_ISB_SC_Lm4ESE_iEESI_SC_Lm5ESE_iEESJ_iiiiiiiii
; %bb.0:
	s_load_dwordx4 s[8:11], s[0:1], 0x38
	s_load_dwordx2 s[16:17], s[0:1], 0x48
	s_load_dword s4, s[0:1], 0xc4
                                        ; implicit-def: $vgpr126 : SGPR spill to VGPR lane
	v_mov_b32_e32 v3, s2
	v_mov_b32_e32 v1, 0
	s_waitcnt lgkmcnt(0)
	s_abs_i32 s3, s9
	v_cvt_f32_u32_e32 v2, s3
	v_writelane_b32 v126, s3, 0
	s_mov_b64 s[6:7], s[10:11]
	s_mov_b32 s5, s9
	v_rcp_iflag_f32_e32 v2, v2
	v_writelane_b32 v126, s4, 1
	s_mul_i32 s8, s17, s8
	s_add_u32 s2, s0, 0xb8
	v_mul_f32_e32 v2, 0x4f7ffffe, v2
	v_writelane_b32 v126, s5, 2
	v_cvt_u32_f32_e32 v2, v2
	v_writelane_b32 v126, s6, 3
	v_writelane_b32 v126, s7, 4
	s_addc_u32 s3, s1, 0
	s_and_b32 s4, s4, 0xffff
	s_ashr_i32 s9, s8, 31
	v_mad_u64_u32 v[0:1], s[6:7], s4, v3, v[0:1]
	v_writelane_b32 v126, s8, 5
	v_readfirstlane_b32 s5, v2
	s_nop 0
	v_writelane_b32 v126, s9, 6
	v_cmp_gt_i64_e32 vcc, s[8:9], v[0:1]
	s_and_saveexec_b64 s[6:7], vcc
	s_cbranch_execz .LBB23_63
; %bb.1:
	s_load_dwordx2 s[6:7], s[0:1], 0x0
	s_load_dwordx4 s[24:27], s[0:1], 0x50
	s_load_dwordx4 s[8:11], s[0:1], 0xc
	;; [unrolled: 1-line block ×3, first 2 shown]
	s_load_dwordx2 s[18:19], s[0:1], 0xa0
                                        ; kill: killed $sgpr0 killed $sgpr1
	s_waitcnt lgkmcnt(0)
	v_writelane_b32 v126, s6, 7
	s_ashr_i32 s12, s13, 31
	s_nop 0
	v_writelane_b32 v126, s7, 8
	s_ashr_i32 s6, s8, 31
	v_writelane_b32 v126, s8, 9
	s_abs_i32 s7, s8
	s_xor_b32 s6, s6, s12
	v_writelane_b32 v126, s9, 10
	v_writelane_b32 v126, s10, 11
	;; [unrolled: 1-line block ×3, first 2 shown]
	s_mov_b32 s13, 0
	v_readlane_b32 s11, v126, 0
	s_sub_i32 s8, 0, s11
	s_mul_i32 s9, s8, s5
	s_mul_hi_u32 s9, s5, s9
	s_add_i32 s5, s5, s9
	s_mul_hi_u32 s5, s7, s5
	s_mul_i32 s9, s5, s11
	s_sub_i32 s7, s7, s9
	s_add_i32 s9, s5, 1
	s_sub_i32 s10, s7, s11
	s_cmp_ge_u32 s7, s11
	s_cselect_b32 s5, s9, s5
	s_cselect_b32 s7, s10, s7
	s_add_i32 s9, s5, 1
	s_cmp_ge_u32 s7, s11
	s_cselect_b32 s5, s9, s5
	s_xor_b32 s5, s5, s6
	s_sub_i32 s6, s5, s6
	s_load_dword s5, s[2:3], 0x0
	s_load_dwordx4 s[20:23], s[0:1], 0x90
	s_load_dword s7, s[0:1], 0x7c
	s_load_dwordx2 s[10:11], s[0:1], 0x1c
	v_writelane_b32 v126, s18, 13
	s_cmp_gt_i32 s6, 0
	s_cselect_b64 s[2:3], -1, 0
	v_writelane_b32 v126, s19, 14
	v_writelane_b32 v126, s12, 15
	;; [unrolled: 1-line block ×3, first 2 shown]
	s_waitcnt lgkmcnt(0)
	v_writelane_b32 v126, s7, 17
	v_writelane_b32 v126, s10, 18
	s_abs_i32 s6, s16
	v_cvt_f32_u32_e32 v3, s6
	v_writelane_b32 v126, s11, 19
	s_load_dwordx2 s[10:11], s[0:1], 0x30
	s_mul_i32 s12, s5, s4
	v_rcp_iflag_f32_e32 v3, v3
	s_abs_i32 s4, s14
	s_abs_i32 s33, s22
	s_waitcnt lgkmcnt(0)
	v_writelane_b32 v126, s10, 20
	v_mul_f32_e32 v3, 0x4f7ffffe, v3
	v_cvt_u32_f32_e32 v3, v3
	v_writelane_b32 v126, s11, 21
	s_load_dwordx2 s[10:11], s[0:1], 0x60
	s_ashr_i32 s0, s16, 31
	s_abs_i32 s1, s15
	v_cvt_f32_u32_e32 v4, s1
	s_waitcnt lgkmcnt(0)
	v_writelane_b32 v126, s10, 22
	v_rcp_iflag_f32_e32 v4, v4
	s_nop 0
	v_writelane_b32 v126, s11, 23
	v_writelane_b32 v126, s24, 24
	v_mul_f32_e32 v4, 0x4f7ffffe, v4
	s_nop 0
	v_writelane_b32 v126, s25, 25
	v_writelane_b32 v126, s26, 26
	;; [unrolled: 1-line block ×4, first 2 shown]
	v_cvt_u32_f32_e32 v4, v4
	s_nop 0
	v_writelane_b32 v126, s13, 29
	v_writelane_b32 v126, s0, 30
	s_sub_i32 s0, 0, s6
	v_mul_lo_u32 v5, s0, v3
	v_mul_hi_u32 v5, v3, v5
	v_add_u32_e32 v3, v3, v5
	scratch_store_dword off, v3, off        ; 4-byte Folded Spill
	v_cvt_f32_u32_e32 v3, s4
	v_writelane_b32 v126, s6, 31
	s_ashr_i32 s0, s15, 31
	v_writelane_b32 v126, s0, 32
	v_rcp_iflag_f32_e32 v3, v3
	s_sub_i32 s0, 0, s1
	v_mul_lo_u32 v5, s0, v4
	v_writelane_b32 v126, s1, 33
	v_mul_f32_e32 v3, 0x4f7ffffe, v3
	v_cvt_u32_f32_e32 v3, v3
	v_mul_hi_u32 v5, v4, v5
	s_ashr_i32 s0, s14, 31
	v_add_u32_e32 v4, v4, v5
	v_writelane_b32 v126, s0, 34
	s_sub_i32 s0, 0, s4
	scratch_store_dword off, v4, off offset:4 ; 4-byte Folded Spill
	v_mul_lo_u32 v4, s0, v3
	s_abs_i32 s0, s20
	v_cvt_f32_u32_e32 v5, s0
	v_mul_hi_u32 v4, v3, v4
	v_add_u32_e32 v3, v3, v4
	scratch_store_dword off, v3, off offset:8 ; 4-byte Folded Spill
	v_rcp_iflag_f32_e32 v4, v5
	v_mul_lo_u32 v3, s8, v2
	v_mul_hi_u32 v3, v2, v3
	v_add_u32_e32 v2, v2, v3
	scratch_store_dword off, v2, off offset:12 ; 4-byte Folded Spill
	v_mul_f32_e32 v2, 0x4f7ffffe, v4
	v_cvt_u32_f32_e32 v2, v2
	v_writelane_b32 v126, s4, 35
	s_ashr_i32 s1, s20, 31
	v_writelane_b32 v126, s1, 36
	s_abs_i32 s1, s21
	v_writelane_b32 v126, s0, 37
	s_sub_i32 s0, 0, s0
	v_cvt_f32_u32_e32 v3, s1
	v_mul_lo_u32 v4, s0, v2
	v_mul_hi_u32 v4, v2, v4
	v_add_u32_e32 v2, v2, v4
	scratch_store_dword off, v2, off offset:16 ; 4-byte Folded Spill
	v_cvt_f32_u32_e32 v2, s33
	v_rcp_iflag_f32_e32 v3, v3
	s_ashr_i32 s0, s21, 31
	v_writelane_b32 v126, s0, 38
	v_rcp_iflag_f32_e32 v2, v2
	v_mul_f32_e32 v3, 0x4f7ffffe, v3
	v_cvt_u32_f32_e32 v3, v3
	v_writelane_b32 v126, s1, 39
	v_mul_f32_e32 v2, 0x4f7ffffe, v2
	v_writelane_b32 v126, s20, 40
	s_sub_i32 s0, 0, s1
	v_cvt_u32_f32_e32 v2, v2
	v_writelane_b32 v126, s21, 41
	v_mul_lo_u32 v4, s0, v3
	v_writelane_b32 v126, s22, 42
	v_mul_hi_u32 v4, v3, v4
	v_writelane_b32 v126, s23, 43
	s_ashr_i32 s0, s22, 31
	v_add_u32_e32 v3, v3, v4
	v_writelane_b32 v126, s0, 44
	s_sub_i32 s0, 0, s33
	scratch_store_dword off, v3, off offset:20 ; 4-byte Folded Spill
	v_mul_lo_u32 v3, s0, v2
	v_mul_hi_u32 v3, v2, v3
	v_add_u32_e32 v70, v2, v3
	v_cndmask_b32_e64 v2, 0, 1, s[2:3]
	v_cmp_ne_u32_e64 s[0:1], 1, v2
	s_mov_b64 s[4:5], 0
	s_nop 0
	v_writelane_b32 v126, s0, 45
	s_nop 1
	v_writelane_b32 v126, s1, 46
	v_writelane_b32 v126, s16, 47
	s_nop 1
	v_writelane_b32 v126, s17, 48
.LBB23_2:                               ; =>This Loop Header: Depth=1
                                        ;     Child Loop BB23_5 Depth 2
	scratch_load_dword v4, off, off         ; 4-byte Folded Reload
	v_writelane_b32 v126, s4, 49
	v_sub_u32_e32 v3, 0, v0
	v_ashrrev_i32_e32 v2, 31, v0
	v_writelane_b32 v126, s5, 50
	v_max_i32_e32 v3, v0, v3
	v_readlane_b32 s0, v126, 30
	s_waitcnt vmcnt(0)
	v_mul_hi_u32 v4, v3, v4
	v_xor_b32_e32 v2, s0, v2
	v_readlane_b32 s0, v126, 31
	s_nop 1
	v_mul_lo_u32 v5, v4, s0
	v_sub_u32_e32 v3, v3, v5
	v_add_u32_e32 v5, 1, v4
	v_cmp_le_u32_e32 vcc, s0, v3
	s_nop 1
	v_cndmask_b32_e32 v4, v4, v5, vcc
	v_subrev_u32_e32 v5, s0, v3
	v_cndmask_b32_e32 v3, v3, v5, vcc
	v_add_u32_e32 v5, 1, v4
	v_cmp_le_u32_e32 vcc, s0, v3
	v_readlane_b32 s0, v126, 32
	s_nop 0
	v_cndmask_b32_e32 v3, v4, v5, vcc
	scratch_load_dword v5, off, off offset:4 ; 4-byte Folded Reload
	v_xor_b32_e32 v3, v3, v2
	v_sub_u32_e32 v2, v3, v2
	v_mul_lo_u32 v3, v2, s16
	v_sub_u32_e32 v4, 0, v2
	v_sub_u32_e32 v71, v0, v3
	v_ashrrev_i32_e32 v3, 31, v2
	v_max_i32_e32 v4, v2, v4
	v_xor_b32_e32 v3, s0, v3
	v_readlane_b32 s0, v126, 33
	s_waitcnt vmcnt(0)
	v_mul_hi_u32 v5, v4, v5
	v_mul_lo_u32 v6, v5, s0
	v_sub_u32_e32 v4, v4, v6
	v_add_u32_e32 v6, 1, v5
	v_cmp_le_u32_e32 vcc, s0, v4
	s_nop 1
	v_cndmask_b32_e32 v5, v5, v6, vcc
	v_subrev_u32_e32 v6, s0, v4
	v_cndmask_b32_e32 v4, v4, v6, vcc
	v_add_u32_e32 v6, 1, v5
	v_cmp_le_u32_e32 vcc, s0, v4
	v_readlane_b32 s0, v126, 1
	v_readlane_b32 s3, v126, 4
	v_cndmask_b32_e32 v4, v5, v6, vcc
	scratch_load_dword v5, off, off offset:8 ; 4-byte Folded Reload
	v_xor_b32_e32 v4, v4, v3
	v_sub_u32_e32 v3, v4, v3
	v_mul_lo_u32 v4, v3, s3
	v_sub_u32_e32 v72, v2, v4
	v_sub_u32_e32 v4, 0, v3
	v_ashrrev_i32_e32 v2, 31, v3
	v_readlane_b32 s0, v126, 34
	v_max_i32_e32 v4, v3, v4
	v_readlane_b32 s2, v126, 3
	v_xor_b32_e32 v2, s0, v2
	v_readlane_b32 s0, v126, 35
	v_readlane_b32 s1, v126, 2
	s_waitcnt vmcnt(0)
	v_mul_hi_u32 v5, v4, v5
	v_mul_lo_u32 v6, v5, s0
	v_sub_u32_e32 v4, v4, v6
	v_add_u32_e32 v6, 1, v5
	v_cmp_le_u32_e32 vcc, s0, v4
	s_nop 1
	v_cndmask_b32_e32 v5, v5, v6, vcc
	v_subrev_u32_e32 v6, s0, v4
	v_cndmask_b32_e32 v4, v4, v6, vcc
	v_add_u32_e32 v6, 1, v5
	v_cmp_le_u32_e32 vcc, s0, v4
	v_readlane_b32 s0, v126, 15
	s_nop 0
	v_cndmask_b32_e32 v4, v5, v6, vcc
	scratch_load_dword v5, off, off offset:12 ; 4-byte Folded Reload
	v_xor_b32_e32 v4, v4, v2
	v_sub_u32_e32 v2, v4, v2
	v_mul_lo_u32 v4, v2, s2
	v_sub_u32_e32 v73, v3, v4
	v_sub_u32_e32 v4, 0, v2
	v_ashrrev_i32_e32 v3, 31, v2
	v_max_i32_e32 v4, v2, v4
	v_xor_b32_e32 v3, s0, v3
	v_readlane_b32 s0, v126, 0
	s_waitcnt vmcnt(0)
	v_mul_hi_u32 v5, v4, v5
	v_mul_lo_u32 v6, v5, s0
	v_sub_u32_e32 v4, v4, v6
	v_add_u32_e32 v6, 1, v5
	v_cmp_le_u32_e32 vcc, s0, v4
	s_nop 1
	v_cndmask_b32_e32 v5, v5, v6, vcc
	v_subrev_u32_e32 v6, s0, v4
	v_cndmask_b32_e32 v4, v4, v6, vcc
	v_add_u32_e32 v6, 1, v5
	v_cmp_le_u32_e32 vcc, s0, v4
	s_nop 1
	v_cndmask_b32_e32 v4, v5, v6, vcc
	v_xor_b32_e32 v4, v4, v3
	v_sub_u32_e32 v75, v4, v3
	v_mul_lo_u32 v3, v75, s1
	v_readlane_b32 s0, v126, 45
	v_readlane_b32 s1, v126, 46
	s_and_b64 vcc, exec, s[0:1]
	v_sub_u32_e32 v74, v2, v3
	s_cbranch_vccnz .LBB23_60
; %bb.3:                                ;   in Loop: Header=BB23_2 Depth=1
	scratch_load_dword v15, off, off offset:16 ; 4-byte Folded Reload
	scratch_load_dword v12, off, off offset:20 ; 4-byte Folded Reload
	v_readlane_b32 s44, v126, 40
	v_readlane_b32 s47, v126, 43
	;; [unrolled: 1-line block ×4, first 2 shown]
	v_add_u32_e32 v4, s47, v73
	v_sub_u32_e32 v6, 0, v4
	v_max_i32_e32 v6, v4, v6
	v_add_u32_e32 v5, s0, v72
	v_readlane_b32 s0, v126, 37
	v_ashrrev_i32_e32 v3, 31, v4
	v_xor_b32_e32 v3, s26, v3
	v_readlane_b32 s1, v126, 14
	v_readlane_b32 s6, v126, 38
	;; [unrolled: 1-line block ×3, first 2 shown]
	v_add_u32_e32 v2, s1, v71
	v_readlane_b32 s1, v126, 39
	v_readlane_b32 s84, v126, 9
	;; [unrolled: 1-line block ×4, first 2 shown]
	v_sub_u32_e32 v23, 2, v2
	v_readlane_b32 s85, v126, 10
	v_readlane_b32 s45, v126, 41
	;; [unrolled: 1-line block ×3, first 2 shown]
                                        ; implicit-def: $vgpr127 : SGPR spill to VGPR lane
	v_mov_b32_e32 v78, 0
	s_waitcnt vmcnt(1)
	v_mul_hi_u32 v7, v6, v15
	v_mul_lo_u32 v8, v7, s0
	v_sub_u32_e32 v6, v6, v8
	v_add_u32_e32 v8, 1, v7
	v_cmp_le_u32_e32 vcc, s0, v6
	s_nop 1
	v_cndmask_b32_e32 v7, v7, v8, vcc
	v_subrev_u32_e32 v8, s0, v6
	v_cndmask_b32_e32 v6, v6, v8, vcc
	v_add_u32_e32 v8, 1, v7
	v_cmp_le_u32_e32 vcc, s0, v6
	s_nop 1
	v_cndmask_b32_e32 v6, v7, v8, vcc
	v_xor_b32_e32 v6, v6, v3
	v_sub_u32_e32 v8, v6, v3
	v_sub_u32_e32 v6, 0, v5
	v_max_i32_e32 v6, v5, v6
	s_waitcnt vmcnt(0)
	v_mul_hi_u32 v7, v6, v12
	v_mul_lo_u32 v9, v7, s1
	v_sub_u32_e32 v6, v6, v9
	v_add_u32_e32 v9, 1, v7
	v_cmp_le_u32_e64 s[2:3], s1, v6
	v_ashrrev_i32_e32 v3, 31, v5
	v_xor_b32_e32 v3, s6, v3
	v_cndmask_b32_e64 v7, v7, v9, s[2:3]
	v_subrev_u32_e32 v9, s1, v6
	v_cndmask_b32_e64 v6, v6, v9, s[2:3]
	v_add_u32_e32 v9, 1, v7
	v_cmp_le_u32_e64 s[2:3], s1, v6
	v_cmp_gt_i32_e32 vcc, s85, v8
	s_nop 0
	v_cndmask_b32_e64 v6, v7, v9, s[2:3]
	v_sub_u32_e32 v7, 0, v2
	v_max_i32_e32 v7, v2, v7
	v_mul_hi_u32 v9, v7, v70
	v_mul_lo_u32 v10, v9, s33
	v_sub_u32_e32 v7, v7, v10
	v_add_u32_e32 v10, 1, v9
	v_cmp_le_u32_e64 s[4:5], s33, v7
	v_xor_b32_e32 v6, v6, v3
	v_sub_u32_e32 v3, v6, v3
	v_cndmask_b32_e64 v9, v9, v10, s[4:5]
	v_subrev_u32_e32 v10, s33, v7
	v_cndmask_b32_e64 v7, v7, v10, s[4:5]
	v_ashrrev_i32_e32 v6, 31, v2
	v_add_u32_e32 v10, 1, v9
	v_cmp_le_u32_e64 s[4:5], s33, v7
	v_xor_b32_e32 v6, s10, v6
	v_cmp_gt_i32_e64 s[2:3], s86, v3
	v_cndmask_b32_e64 v7, v9, v10, s[4:5]
	v_xor_b32_e32 v7, v7, v6
	v_sub_u32_e32 v56, v7, v6
	v_add_u32_e32 v6, -2, v5
	v_sub_u32_e32 v9, 2, v5
	v_max_i32_e32 v9, v6, v9
	v_mul_hi_u32 v10, v9, v12
	v_mul_lo_u32 v11, v10, s1
	v_sub_u32_e32 v9, v9, v11
	v_add_u32_e32 v11, 1, v10
	v_cmp_le_u32_e64 s[4:5], s1, v9
	v_ashrrev_i32_e32 v7, 31, v6
	v_xor_b32_e32 v7, s6, v7
	v_cndmask_b32_e64 v10, v10, v11, s[4:5]
	v_subrev_u32_e32 v11, s1, v9
	v_cndmask_b32_e64 v9, v9, v11, s[4:5]
	v_add_u32_e32 v11, 1, v10
	v_cmp_le_u32_e64 s[4:5], s1, v9
	v_or_b32_e32 v16, v56, v3
	s_nop 0
	v_cndmask_b32_e64 v9, v10, v11, s[4:5]
	v_xor_b32_e32 v9, v9, v7
	v_sub_u32_e32 v57, v9, v7
	v_add_u32_e32 v9, -1, v5
	v_sub_u32_e32 v11, 1, v5
	v_max_i32_e32 v11, v9, v11
	v_mul_hi_u32 v12, v11, v12
	v_mul_lo_u32 v13, v12, s1
	v_sub_u32_e32 v11, v11, v13
	v_add_u32_e32 v13, 1, v12
	v_cmp_le_u32_e64 s[4:5], s1, v11
	v_ashrrev_i32_e32 v10, 31, v9
	v_xor_b32_e32 v10, s6, v10
	v_cndmask_b32_e64 v12, v12, v13, s[4:5]
	v_subrev_u32_e32 v13, s1, v11
	v_cndmask_b32_e64 v11, v11, v13, s[4:5]
	v_add_u32_e32 v13, 1, v12
	v_cmp_le_u32_e64 s[4:5], s1, v11
	v_or_b32_e32 v7, v56, v57
	v_or_b32_e32 v31, v7, v8
	v_cndmask_b32_e64 v11, v12, v13, s[4:5]
	v_xor_b32_e32 v11, v11, v10
	v_sub_u32_e32 v50, v11, v10
	v_add_u32_e32 v10, -2, v4
	v_sub_u32_e32 v11, 2, v4
	v_max_i32_e32 v11, v10, v11
	v_mul_hi_u32 v12, v11, v15
	v_mul_lo_u32 v14, v12, s0
	v_sub_u32_e32 v11, v11, v14
	v_add_u32_e32 v14, 1, v12
	v_cmp_le_u32_e64 s[4:5], s0, v11
	v_or_b32_e32 v13, v56, v50
	v_or_b32_e32 v28, v13, v8
	v_cndmask_b32_e64 v12, v12, v14, s[4:5]
	v_subrev_u32_e32 v14, s0, v11
	v_cndmask_b32_e64 v11, v11, v14, s[4:5]
	v_add_u32_e32 v14, 1, v12
	v_cmp_le_u32_e64 s[4:5], s0, v11
	s_nop 1
	v_cndmask_b32_e64 v18, v12, v14, s[4:5]
	v_add_u32_e32 v12, -1, v4
	v_sub_u32_e32 v14, 1, v4
	v_max_i32_e32 v14, v12, v14
	v_mul_hi_u32 v15, v14, v15
	v_mul_lo_u32 v17, v15, s0
	v_sub_u32_e32 v14, v14, v17
	v_add_u32_e32 v17, 1, v15
	v_cmp_le_u32_e64 s[4:5], s0, v14
	v_ashrrev_i32_e32 v11, 31, v12
	v_xor_b32_e32 v11, s26, v11
	v_cndmask_b32_e64 v15, v15, v17, s[4:5]
	v_subrev_u32_e32 v17, s0, v14
	v_cndmask_b32_e64 v14, v14, v17, s[4:5]
	v_add_u32_e32 v17, 1, v15
	v_cmp_le_u32_e64 s[4:5], s0, v14
	s_nop 1
	v_cndmask_b32_e64 v14, v15, v17, s[4:5]
	v_xor_b32_e32 v14, v14, v11
	v_sub_u32_e32 v26, v14, v11
	v_or_b32_e32 v11, v16, v8
	v_cmp_lt_i32_e64 s[6:7], -1, v11
	v_add_u32_e32 v11, -1, v2
	v_sub_u32_e32 v15, 1, v2
	v_max_i32_e32 v15, v11, v15
	v_mul_hi_u32 v17, v15, v70
	v_cmp_gt_i32_e64 s[4:5], s87, v56
	v_mul_lo_u32 v19, v17, s33
	s_and_b64 s[12:13], s[4:5], s[2:3]
	v_sub_u32_e32 v15, v15, v19
	s_and_b64 s[0:1], s[12:13], s[6:7]
	v_add_u32_e32 v19, 1, v17
	v_cmp_le_u32_e64 s[6:7], s33, v15
	v_ashrrev_i32_e32 v14, 31, v11
	v_xor_b32_e32 v14, s10, v14
	v_cndmask_b32_e64 v17, v17, v19, s[6:7]
	v_subrev_u32_e32 v19, s33, v15
	v_cndmask_b32_e64 v15, v15, v19, s[6:7]
	v_add_u32_e32 v19, 1, v17
	v_cmp_le_u32_e64 s[6:7], s33, v15
	s_and_b64 s[0:1], s[0:1], vcc
	v_writelane_b32 v126, s0, 51
	v_cndmask_b32_e64 v15, v17, v19, s[6:7]
	v_xor_b32_e32 v15, v15, v14
	v_sub_u32_e32 v58, v15, v14
	v_or_b32_e32 v21, v58, v3
	v_or_b32_e32 v14, v21, v8
	v_cmp_lt_i32_e64 s[8:9], -1, v14
	v_add_u32_e32 v14, -2, v2
	v_max_i32_e32 v23, v14, v23
	v_mul_hi_u32 v24, v23, v70
	v_cmp_gt_i32_e64 s[6:7], s87, v58
	v_mul_lo_u32 v25, v24, s33
	s_and_b64 s[14:15], s[6:7], s[2:3]
	v_sub_u32_e32 v23, v23, v25
	v_writelane_b32 v126, s1, 52
	s_and_b64 s[0:1], s[14:15], s[8:9]
	v_add_u32_e32 v25, 1, v24
	v_cmp_le_u32_e64 s[8:9], s33, v23
	v_ashrrev_i32_e32 v17, 31, v14
	v_xor_b32_e32 v17, s10, v17
	v_cndmask_b32_e64 v24, v24, v25, s[8:9]
	v_subrev_u32_e32 v25, s33, v23
	v_cndmask_b32_e64 v23, v23, v25, s[8:9]
	v_add_u32_e32 v25, 1, v24
	v_cmp_le_u32_e64 s[8:9], s33, v23
	s_and_b64 s[0:1], s[0:1], vcc
	v_writelane_b32 v126, s0, 53
	v_cndmask_b32_e64 v23, v24, v25, s[8:9]
	v_xor_b32_e32 v23, v23, v17
	v_sub_u32_e32 v60, v23, v17
	v_or_b32_e32 v24, v60, v3
	v_or_b32_e32 v27, v24, v8
	v_cmp_gt_i32_e64 s[10:11], s87, v60
	v_cmp_lt_i32_e64 s[8:9], -1, v27
	s_and_b64 s[16:17], s[10:11], s[2:3]
	v_writelane_b32 v126, s1, 54
	s_and_b64 s[0:1], s[16:17], s[8:9]
	s_and_b64 s[0:1], s[0:1], vcc
	v_cmp_gt_i32_e64 s[2:3], s86, v50
	v_writelane_b32 v126, s0, 55
	v_cmp_lt_i32_e64 s[8:9], -1, v28
	s_and_b64 s[20:21], s[4:5], s[2:3]
	v_or_b32_e32 v19, v58, v50
	v_writelane_b32 v126, s1, 56
	s_and_b64 s[0:1], s[20:21], s[8:9]
	s_and_b64 s[0:1], s[0:1], vcc
	v_or_b32_e32 v29, v19, v8
	v_writelane_b32 v126, s0, 57
	v_cmp_lt_i32_e64 s[8:9], -1, v29
	s_and_b64 s[22:23], s[6:7], s[2:3]
	v_or_b32_e32 v23, v60, v50
	v_writelane_b32 v126, s1, 58
	s_and_b64 s[0:1], s[22:23], s[8:9]
	s_and_b64 s[0:1], s[0:1], vcc
	v_or_b32_e32 v30, v23, v8
	v_writelane_b32 v126, s0, 59
	v_cmp_lt_i32_e64 s[8:9], -1, v30
	s_and_b64 s[24:25], s[10:11], s[2:3]
	v_writelane_b32 v126, s1, 60
	s_and_b64 s[0:1], s[24:25], s[8:9]
	s_and_b64 s[0:1], s[0:1], vcc
	v_cmp_gt_i32_e64 s[2:3], s86, v57
	v_writelane_b32 v126, s0, 61
	v_cmp_lt_i32_e64 s[8:9], -1, v31
	s_and_b64 s[18:19], s[4:5], s[2:3]
	v_or_b32_e32 v15, v58, v57
	v_writelane_b32 v126, s1, 62
	s_and_b64 s[0:1], s[18:19], s[8:9]
	v_or_b32_e32 v17, v60, v57
	s_and_b64 s[0:1], s[0:1], vcc
	v_or_b32_e32 v32, v15, v8
	v_writelane_b32 v126, s0, 63
	v_cmp_lt_i32_e64 s[4:5], -1, v32
	s_and_b64 s[8:9], s[6:7], s[2:3]
	v_or_b32_e32 v33, v17, v8
	v_or_b32_e32 v20, v16, v26
	v_writelane_b32 v127, s1, 0
	s_and_b64 s[0:1], s[8:9], s[4:5]
	v_cmp_lt_i32_e64 s[4:5], -1, v33
	s_and_b64 s[10:11], s[10:11], s[2:3]
	s_and_b64 s[78:79], s[0:1], vcc
	s_and_b64 s[0:1], s[10:11], s[4:5]
	v_cmp_lt_i32_e64 s[2:3], -1, v20
	v_or_b32_e32 v22, v21, v26
	s_and_b64 s[0:1], s[0:1], vcc
	v_cmp_gt_i32_e32 vcc, s85, v26
	s_and_b64 s[2:3], s[12:13], s[2:3]
	s_and_b64 s[76:77], s[2:3], vcc
	v_cmp_lt_i32_e64 s[2:3], -1, v22
	v_or_b32_e32 v25, v24, v26
	s_and_b64 s[2:3], s[14:15], s[2:3]
	s_and_b64 s[82:83], s[2:3], vcc
	v_cmp_lt_i32_e64 s[2:3], -1, v25
	v_or_b32_e32 v27, v13, v26
	;; [unrolled: 4-line block ×6, first 2 shown]
	s_and_b64 s[2:3], s[18:19], s[2:3]
	v_ashrrev_i32_e32 v20, 31, v10
	s_and_b64 s[74:75], s[2:3], vcc
	v_cmp_lt_i32_e64 s[2:3], -1, v31
	v_xor_b32_e32 v20, s26, v20
	v_or_b32_e32 v32, v17, v26
	s_and_b64 s[2:3], s[8:9], s[2:3]
	v_xor_b32_e32 v18, v18, v20
	s_and_b64 s[68:69], s[2:3], vcc
	v_cmp_lt_i32_e64 s[2:3], -1, v32
	v_sub_u32_e32 v44, v18, v20
	s_and_b64 s[2:3], s[10:11], s[2:3]
	v_or_b32_e32 v16, v16, v44
	s_and_b64 s[70:71], s[2:3], vcc
	v_cmp_lt_i32_e32 vcc, -1, v16
	v_or_b32_e32 v16, v21, v44
	s_and_b64 s[12:13], s[12:13], vcc
	v_cmp_lt_i32_e32 vcc, -1, v16
	;; [unrolled: 3-line block ×6, first 2 shown]
	v_mul_lo_u32 v13, v8, s44
	v_mul_lo_u32 v16, v3, s45
	v_mul_lo_u32 v18, v50, s45
	v_mul_lo_u32 v19, v57, s45
	s_and_b64 s[24:25], s[24:25], vcc
	v_cmp_eq_u32_e32 vcc, v13, v4
	v_cmp_eq_u32_e64 s[2:3], v16, v5
	v_cmp_eq_u32_e64 s[4:5], v18, v9
	;; [unrolled: 1-line block ×3, first 2 shown]
	v_mul_lo_u32 v4, v26, s44
	s_and_b64 s[26:27], vcc, s[2:3]
	s_and_b64 s[28:29], vcc, s[4:5]
	;; [unrolled: 1-line block ×3, first 2 shown]
	v_cmp_eq_u32_e32 vcc, v4, v12
	v_mul_lo_u32 v4, v44, s44
	s_and_b64 s[34:35], vcc, s[2:3]
	s_and_b64 s[36:37], vcc, s[4:5]
	s_and_b64 s[38:39], vcc, s[6:7]
	v_cmp_eq_u32_e32 vcc, v4, v10
	v_or_b32_e32 v4, v7, v44
	s_and_b64 s[42:43], vcc, s[2:3]
	s_and_b64 s[48:49], vcc, s[4:5]
	s_and_b64 s[56:57], vcc, s[6:7]
	v_cmp_lt_i32_e32 vcc, -1, v4
	v_or_b32_e32 v4, v15, v44
	s_and_b64 s[2:3], s[18:19], vcc
	v_cmp_lt_i32_e32 vcc, -1, v4
	v_or_b32_e32 v4, v17, v44
	s_and_b64 s[4:5], s[8:9], vcc
	v_cmp_lt_i32_e32 vcc, -1, v4
	v_mul_lo_u32 v4, v56, s46
	v_mul_lo_u32 v5, v58, s46
	;; [unrolled: 1-line block ×3, first 2 shown]
	s_and_b64 s[6:7], s[10:11], vcc
	v_cmp_gt_i32_e32 vcc, s85, v44
	v_cmp_eq_u32_e64 s[50:51], v4, v2
	v_cmp_eq_u32_e64 s[52:53], v5, v11
	;; [unrolled: 1-line block ×3, first 2 shown]
	v_readlane_b32 s88, v126, 18
	v_mul_lo_u32 v20, v8, s86
	v_mul_lo_u32 v38, v26, s86
	;; [unrolled: 1-line block ×3, first 2 shown]
	s_and_b64 s[90:91], s[12:13], vcc
	s_and_b64 s[64:65], s[14:15], vcc
	;; [unrolled: 1-line block ×9, first 2 shown]
	s_and_b64 vcc, s[26:27], s[50:51]
	s_and_b64 s[2:3], s[26:27], s[52:53]
	s_and_b64 s[4:5], s[26:27], s[54:55]
	;; [unrolled: 1-line block ×26, first 2 shown]
	v_readlane_b32 s57, v126, 16
	v_readlane_b32 s89, v126, 19
	v_add_u32_e32 v8, v3, v20
	v_add_u32_e32 v26, v3, v38
	;; [unrolled: 1-line block ×3, first 2 shown]
	s_mul_i32 s56, s89, s57
	v_mul_lo_u32 v3, v3, s87
	v_mul_lo_u32 v2, s56, v74
	;; [unrolled: 1-line block ×3, first 2 shown]
	v_readlane_b32 s56, v126, 17
	v_add_u32_e32 v44, v56, v3
	v_add_u32_e32 v46, v58, v3
	;; [unrolled: 1-line block ×5, first 2 shown]
	v_mul_lo_u32 v4, s56, v76
	v_readlane_b32 s56, v126, 22
	v_mul_lo_u32 v3, v3, s87
	v_ashrrev_i32_e32 v5, 31, v4
	v_readlane_b32 s57, v126, 23
	v_add_u32_e32 v14, v50, v20
	v_add_u32_e32 v20, v57, v20
	v_add_u32_e32 v32, v50, v38
	v_add_u32_e32 v38, v57, v38
	v_add_u32_e32 v50, v56, v3
	v_add_u32_e32 v52, v58, v3
	v_add_u32_e32 v54, v60, v3
	v_add_u32_e32 v3, v57, v59
	v_lshl_add_u64 v[4:5], v[4:5], 1, s[56:57]
	v_mul_lo_u32 v6, s88, v75
	v_readlane_b32 s56, v126, 7
	v_mul_lo_u32 v12, v8, s87
	v_mul_lo_u32 v18, v14, s87
	;; [unrolled: 1-line block ×7, first 2 shown]
	v_ashrrev_i32_e32 v7, 31, v6
	v_readlane_b32 s57, v126, 8
	v_add_u32_e32 v8, v56, v12
	v_add_u32_e32 v10, v58, v12
	;; [unrolled: 1-line block ×21, first 2 shown]
	v_lshl_add_u64 v[6:7], v[6:7], 1, s[56:57]
	v_ashrrev_i32_e32 v9, 31, v8
	v_ashrrev_i32_e32 v11, 31, v10
	;; [unrolled: 1-line block ×27, first 2 shown]
	s_mov_b64 s[88:89], 0
	s_branch .LBB23_5
.LBB23_4:                               ;   in Loop: Header=BB23_5 Depth=2
	s_or_b64 exec, exec, s[56:57]
	s_waitcnt vmcnt(26)
	v_fma_mix_f32 v3, v3, v79, v78 op_sel_hi:[0,1,0]
	v_cndmask_b32_e32 v3, v78, v3, vcc
	s_waitcnt vmcnt(25)
	v_fma_mix_f32 v62, v82, v80, v3 op_sel_hi:[0,1,0]
	v_cndmask_b32_e64 v3, v3, v62, s[2:3]
	s_waitcnt vmcnt(24)
	v_fma_mix_f32 v62, v81, v83, v3 op_sel_hi:[0,1,0]
	v_cndmask_b32_e64 v3, v3, v62, s[4:5]
	;; [unrolled: 3-line block ×24, first 2 shown]
	v_add_u32_e32 v76, 1, v76
	s_waitcnt vmcnt(1)
	v_fma_mix_f32 v62, v68, v66, v3 op_sel_hi:[0,1,0]
	v_cmp_ge_i32_e64 s[56:57], v76, v77
	v_cndmask_b32_e64 v3, v3, v62, s[52:53]
	s_or_b64 s[88:89], s[56:57], s[88:89]
	v_readlane_b32 s56, v126, 18
	s_waitcnt vmcnt(0)
	v_fma_mix_f32 v62, v67, v69, v3 op_sel_hi:[0,1,0]
	v_readlane_b32 s57, v126, 19
	v_cndmask_b32_e64 v78, v3, v62, s[54:55]
	v_lshl_add_u64 v[4:5], v[4:5], 0, 54
	v_add_u32_e32 v2, s57, v2
	s_andn2_b64 exec, exec, s[88:89]
	s_cbranch_execz .LBB23_59
.LBB23_5:                               ;   Parent Loop BB23_2 Depth=1
                                        ; =>  This Inner Loop Header: Depth=2
	global_load_ushort v79, v[4:5], off
	v_ashrrev_i32_e32 v3, 31, v2
	v_lshl_add_u64 v[62:63], v[2:3], 1, v[6:7]
	v_mov_b32_e32 v3, 0
	s_mov_b64 s[56:57], exec
	v_readlane_b32 s86, v126, 51
	v_readlane_b32 s87, v126, 52
	s_and_b64 s[86:87], s[56:57], s[86:87]
	s_mov_b64 exec, s[86:87]
	s_cbranch_execz .LBB23_7
; %bb.6:                                ;   in Loop: Header=BB23_5 Depth=2
	v_lshl_add_u64 v[64:65], v[8:9], 1, v[62:63]
	global_load_ushort v3, v[64:65], off
	s_waitcnt vmcnt(0)
	v_cvt_f32_f16_e32 v3, v3
.LBB23_7:                               ;   in Loop: Header=BB23_5 Depth=2
	s_or_b64 exec, exec, s[56:57]
	global_load_ushort v80, v[4:5], off offset:2
	v_mov_b32_e32 v81, 0
	v_mov_b32_e32 v82, 0
	s_mov_b64 s[56:57], exec
	v_readlane_b32 s86, v126, 53
	v_readlane_b32 s87, v126, 54
	s_and_b64 s[86:87], s[56:57], s[86:87]
	s_mov_b64 exec, s[86:87]
	s_cbranch_execz .LBB23_9
; %bb.8:                                ;   in Loop: Header=BB23_5 Depth=2
	v_lshl_add_u64 v[64:65], v[10:11], 1, v[62:63]
	global_load_ushort v64, v[64:65], off
	s_waitcnt vmcnt(0)
	v_cvt_f32_f16_e32 v82, v64
.LBB23_9:                               ;   in Loop: Header=BB23_5 Depth=2
	s_or_b64 exec, exec, s[56:57]
	global_load_ushort v83, v[4:5], off offset:4
	s_mov_b64 s[56:57], exec
	v_readlane_b32 s86, v126, 55
	v_readlane_b32 s87, v126, 56
	s_and_b64 s[86:87], s[56:57], s[86:87]
	s_mov_b64 exec, s[86:87]
	s_cbranch_execz .LBB23_11
; %bb.10:                               ;   in Loop: Header=BB23_5 Depth=2
	v_lshl_add_u64 v[64:65], v[12:13], 1, v[62:63]
	global_load_ushort v64, v[64:65], off
	s_waitcnt vmcnt(0)
	v_cvt_f32_f16_e32 v81, v64
.LBB23_11:                              ;   in Loop: Header=BB23_5 Depth=2
	s_or_b64 exec, exec, s[56:57]
	global_load_ushort v84, v[4:5], off offset:6
	v_mov_b32_e32 v85, 0
	v_mov_b32_e32 v86, 0
	s_mov_b64 s[56:57], exec
	v_readlane_b32 s86, v126, 57
	v_readlane_b32 s87, v126, 58
	s_and_b64 s[86:87], s[56:57], s[86:87]
	s_mov_b64 exec, s[86:87]
	s_cbranch_execz .LBB23_13
; %bb.12:                               ;   in Loop: Header=BB23_5 Depth=2
	v_lshl_add_u64 v[64:65], v[14:15], 1, v[62:63]
	global_load_ushort v64, v[64:65], off
	s_waitcnt vmcnt(0)
	v_cvt_f32_f16_e32 v86, v64
.LBB23_13:                              ;   in Loop: Header=BB23_5 Depth=2
	s_or_b64 exec, exec, s[56:57]
	global_load_ushort v87, v[4:5], off offset:8
	s_mov_b64 s[56:57], exec
	v_readlane_b32 s86, v126, 59
	v_readlane_b32 s87, v126, 60
	s_and_b64 s[86:87], s[56:57], s[86:87]
	s_mov_b64 exec, s[86:87]
	s_cbranch_execz .LBB23_15
; %bb.14:                               ;   in Loop: Header=BB23_5 Depth=2
	v_lshl_add_u64 v[64:65], v[16:17], 1, v[62:63]
	global_load_ushort v64, v[64:65], off
	s_waitcnt vmcnt(0)
	v_cvt_f32_f16_e32 v85, v64
.LBB23_15:                              ;   in Loop: Header=BB23_5 Depth=2
	s_or_b64 exec, exec, s[56:57]
	global_load_ushort v88, v[4:5], off offset:10
	v_mov_b32_e32 v89, 0
	v_mov_b32_e32 v90, 0
	s_mov_b64 s[56:57], exec
	v_readlane_b32 s86, v126, 61
	v_readlane_b32 s87, v126, 62
	s_and_b64 s[86:87], s[56:57], s[86:87]
	s_mov_b64 exec, s[86:87]
	s_cbranch_execz .LBB23_17
; %bb.16:                               ;   in Loop: Header=BB23_5 Depth=2
	v_lshl_add_u64 v[64:65], v[18:19], 1, v[62:63]
	global_load_ushort v64, v[64:65], off
	s_waitcnt vmcnt(0)
	v_cvt_f32_f16_e32 v90, v64
.LBB23_17:                              ;   in Loop: Header=BB23_5 Depth=2
	s_or_b64 exec, exec, s[56:57]
	global_load_ushort v91, v[4:5], off offset:12
	s_mov_b64 s[56:57], exec
	v_readlane_b32 s86, v126, 63
	v_readlane_b32 s87, v127, 0
	s_and_b64 s[86:87], s[56:57], s[86:87]
	s_mov_b64 exec, s[86:87]
	s_cbranch_execz .LBB23_19
; %bb.18:                               ;   in Loop: Header=BB23_5 Depth=2
	v_lshl_add_u64 v[64:65], v[20:21], 1, v[62:63]
	global_load_ushort v64, v[64:65], off
	s_waitcnt vmcnt(0)
	v_cvt_f32_f16_e32 v89, v64
.LBB23_19:                              ;   in Loop: Header=BB23_5 Depth=2
	s_or_b64 exec, exec, s[56:57]
	global_load_ushort v92, v[4:5], off offset:14
	v_mov_b32_e32 v93, 0
	v_mov_b32_e32 v94, 0
	s_and_saveexec_b64 s[56:57], s[78:79]
	s_cbranch_execz .LBB23_21
; %bb.20:                               ;   in Loop: Header=BB23_5 Depth=2
	v_lshl_add_u64 v[64:65], v[22:23], 1, v[62:63]
	global_load_ushort v64, v[64:65], off
	s_waitcnt vmcnt(0)
	v_cvt_f32_f16_e32 v94, v64
.LBB23_21:                              ;   in Loop: Header=BB23_5 Depth=2
	s_or_b64 exec, exec, s[56:57]
	global_load_ushort v95, v[4:5], off offset:16
	s_and_saveexec_b64 s[56:57], s[0:1]
	s_cbranch_execz .LBB23_23
; %bb.22:                               ;   in Loop: Header=BB23_5 Depth=2
	v_lshl_add_u64 v[64:65], v[24:25], 1, v[62:63]
	global_load_ushort v64, v[64:65], off
	s_waitcnt vmcnt(0)
	v_cvt_f32_f16_e32 v93, v64
.LBB23_23:                              ;   in Loop: Header=BB23_5 Depth=2
	s_or_b64 exec, exec, s[56:57]
	global_load_ushort v96, v[4:5], off offset:18
	v_mov_b32_e32 v97, 0
	v_mov_b32_e32 v98, 0
	s_and_saveexec_b64 s[56:57], s[76:77]
	s_cbranch_execz .LBB23_25
; %bb.24:                               ;   in Loop: Header=BB23_5 Depth=2
	v_lshl_add_u64 v[64:65], v[26:27], 1, v[62:63]
	global_load_ushort v64, v[64:65], off
	s_waitcnt vmcnt(0)
	v_cvt_f32_f16_e32 v98, v64
.LBB23_25:                              ;   in Loop: Header=BB23_5 Depth=2
	s_or_b64 exec, exec, s[56:57]
	global_load_ushort v99, v[4:5], off offset:20
	s_and_saveexec_b64 s[56:57], s[82:83]
	;; [unrolled: 22-line block ×10, first 2 shown]
	s_cbranch_execz .LBB23_4
; %bb.58:                               ;   in Loop: Header=BB23_5 Depth=2
	v_lshl_add_u64 v[62:63], v[60:61], 1, v[62:63]
	global_load_ushort v62, v[62:63], off
	s_waitcnt vmcnt(0)
	v_cvt_f32_f16_e32 v67, v62
	s_branch .LBB23_4
.LBB23_59:                              ;   in Loop: Header=BB23_2 Depth=1
	s_or_b64 exec, exec, s[88:89]
	v_cvt_f16_f32_e32 v2, v78
	v_readlane_b32 s16, v126, 47
	v_readlane_b32 s17, v126, 48
	s_branch .LBB23_61
.LBB23_60:                              ;   in Loop: Header=BB23_2 Depth=1
	v_mov_b32_e32 v2, 0
.LBB23_61:                              ;   in Loop: Header=BB23_2 Depth=1
	v_readlane_b32 s4, v126, 49
	v_readlane_b32 s5, v126, 50
; %bb.62:                               ;   in Loop: Header=BB23_2 Depth=1
	v_mul_lo_u32 v4, v75, s17
	v_readlane_b32 s0, v126, 20
	v_ashrrev_i32_e32 v5, 31, v4
	v_readlane_b32 s1, v126, 21
	s_nop 1
	v_lshl_add_u64 v[4:5], v[4:5], 1, s[0:1]
	v_readlane_b32 s0, v126, 24
	v_readlane_b32 s1, v126, 25
	;; [unrolled: 1-line block ×3, first 2 shown]
	v_mul_lo_u32 v6, s0, v74
	v_ashrrev_i32_e32 v7, 31, v6
	v_lshl_add_u64 v[4:5], v[6:7], 1, v[4:5]
	v_mul_lo_u32 v6, s1, v73
	v_ashrrev_i32_e32 v7, 31, v6
	v_readlane_b32 s0, v126, 28
	v_lshl_add_u64 v[4:5], v[6:7], 1, v[4:5]
	v_mul_lo_u32 v6, s2, v72
	v_readlane_b32 s1, v126, 29
	v_readlane_b32 s3, v126, 27
	v_ashrrev_i32_e32 v7, 31, v6
	v_lshl_add_u64 v[0:1], v[0:1], 0, s[0:1]
	v_readlane_b32 s0, v126, 5
	v_lshl_add_u64 v[4:5], v[6:7], 1, v[4:5]
	v_mul_lo_u32 v6, s3, v71
	v_readlane_b32 s1, v126, 6
	v_ashrrev_i32_e32 v7, 31, v6
	v_lshl_add_u64 v[4:5], v[6:7], 1, v[4:5]
	v_cmp_le_i64_e32 vcc, s[0:1], v[0:1]
	s_or_b64 s[4:5], vcc, s[4:5]
	global_store_short v[4:5], v2, off
	s_andn2_b64 exec, exec, s[4:5]
	s_cbranch_execnz .LBB23_2
.LBB23_63:
	s_endpgm
	.section	.rodata,"a",@progbits
	.p2align	6, 0x0
	.amdhsa_kernel _ZN2at6native12_GLOBAL__N_143conv_depthwise3d_cuda_backward_input_kernelIN3c104HalfEfLi3ELi3ELi3ELi1ELi1ELi1ELin1ELin1ELin1EEEvN5torch10headeronly6detail27GenericPackedTensorAccessorINS7_14TensorAccessorINS3_8ArrayRefIlEEKT_Lm4ENS6_16DefaultPtrTraitsEiEENS_6detail16IndexBoundsCheckILm5EiEESD_Lm5ESE_iEENS8_INS9_ISB_SC_Lm4ESE_iEESI_SC_Lm5ESE_iEESJ_iiiiiiiii
		.amdhsa_group_segment_fixed_size 0
		.amdhsa_private_segment_fixed_size 28
		.amdhsa_kernarg_size 440
		.amdhsa_user_sgpr_count 2
		.amdhsa_user_sgpr_dispatch_ptr 0
		.amdhsa_user_sgpr_queue_ptr 0
		.amdhsa_user_sgpr_kernarg_segment_ptr 1
		.amdhsa_user_sgpr_dispatch_id 0
		.amdhsa_user_sgpr_kernarg_preload_length 0
		.amdhsa_user_sgpr_kernarg_preload_offset 0
		.amdhsa_user_sgpr_private_segment_size 0
		.amdhsa_uses_dynamic_stack 0
		.amdhsa_enable_private_segment 1
		.amdhsa_system_sgpr_workgroup_id_x 1
		.amdhsa_system_sgpr_workgroup_id_y 0
		.amdhsa_system_sgpr_workgroup_id_z 0
		.amdhsa_system_sgpr_workgroup_info 0
		.amdhsa_system_vgpr_workitem_id 0
		.amdhsa_next_free_vgpr 128
		.amdhsa_next_free_sgpr 100
		.amdhsa_accum_offset 128
		.amdhsa_reserve_vcc 1
		.amdhsa_float_round_mode_32 0
		.amdhsa_float_round_mode_16_64 0
		.amdhsa_float_denorm_mode_32 3
		.amdhsa_float_denorm_mode_16_64 3
		.amdhsa_dx10_clamp 1
		.amdhsa_ieee_mode 1
		.amdhsa_fp16_overflow 0
		.amdhsa_tg_split 0
		.amdhsa_exception_fp_ieee_invalid_op 0
		.amdhsa_exception_fp_denorm_src 0
		.amdhsa_exception_fp_ieee_div_zero 0
		.amdhsa_exception_fp_ieee_overflow 0
		.amdhsa_exception_fp_ieee_underflow 0
		.amdhsa_exception_fp_ieee_inexact 0
		.amdhsa_exception_int_div_zero 0
	.end_amdhsa_kernel
	.section	.text._ZN2at6native12_GLOBAL__N_143conv_depthwise3d_cuda_backward_input_kernelIN3c104HalfEfLi3ELi3ELi3ELi1ELi1ELi1ELin1ELin1ELin1EEEvN5torch10headeronly6detail27GenericPackedTensorAccessorINS7_14TensorAccessorINS3_8ArrayRefIlEEKT_Lm4ENS6_16DefaultPtrTraitsEiEENS_6detail16IndexBoundsCheckILm5EiEESD_Lm5ESE_iEENS8_INS9_ISB_SC_Lm4ESE_iEESI_SC_Lm5ESE_iEESJ_iiiiiiiii,"axG",@progbits,_ZN2at6native12_GLOBAL__N_143conv_depthwise3d_cuda_backward_input_kernelIN3c104HalfEfLi3ELi3ELi3ELi1ELi1ELi1ELin1ELin1ELin1EEEvN5torch10headeronly6detail27GenericPackedTensorAccessorINS7_14TensorAccessorINS3_8ArrayRefIlEEKT_Lm4ENS6_16DefaultPtrTraitsEiEENS_6detail16IndexBoundsCheckILm5EiEESD_Lm5ESE_iEENS8_INS9_ISB_SC_Lm4ESE_iEESI_SC_Lm5ESE_iEESJ_iiiiiiiii,comdat
.Lfunc_end23:
	.size	_ZN2at6native12_GLOBAL__N_143conv_depthwise3d_cuda_backward_input_kernelIN3c104HalfEfLi3ELi3ELi3ELi1ELi1ELi1ELin1ELin1ELin1EEEvN5torch10headeronly6detail27GenericPackedTensorAccessorINS7_14TensorAccessorINS3_8ArrayRefIlEEKT_Lm4ENS6_16DefaultPtrTraitsEiEENS_6detail16IndexBoundsCheckILm5EiEESD_Lm5ESE_iEENS8_INS9_ISB_SC_Lm4ESE_iEESI_SC_Lm5ESE_iEESJ_iiiiiiiii, .Lfunc_end23-_ZN2at6native12_GLOBAL__N_143conv_depthwise3d_cuda_backward_input_kernelIN3c104HalfEfLi3ELi3ELi3ELi1ELi1ELi1ELin1ELin1ELin1EEEvN5torch10headeronly6detail27GenericPackedTensorAccessorINS7_14TensorAccessorINS3_8ArrayRefIlEEKT_Lm4ENS6_16DefaultPtrTraitsEiEENS_6detail16IndexBoundsCheckILm5EiEESD_Lm5ESE_iEENS8_INS9_ISB_SC_Lm4ESE_iEESI_SC_Lm5ESE_iEESJ_iiiiiiiii
                                        ; -- End function
	.set _ZN2at6native12_GLOBAL__N_143conv_depthwise3d_cuda_backward_input_kernelIN3c104HalfEfLi3ELi3ELi3ELi1ELi1ELi1ELin1ELin1ELin1EEEvN5torch10headeronly6detail27GenericPackedTensorAccessorINS7_14TensorAccessorINS3_8ArrayRefIlEEKT_Lm4ENS6_16DefaultPtrTraitsEiEENS_6detail16IndexBoundsCheckILm5EiEESD_Lm5ESE_iEENS8_INS9_ISB_SC_Lm4ESE_iEESI_SC_Lm5ESE_iEESJ_iiiiiiiii.num_vgpr, 128
	.set _ZN2at6native12_GLOBAL__N_143conv_depthwise3d_cuda_backward_input_kernelIN3c104HalfEfLi3ELi3ELi3ELi1ELi1ELi1ELin1ELin1ELin1EEEvN5torch10headeronly6detail27GenericPackedTensorAccessorINS7_14TensorAccessorINS3_8ArrayRefIlEEKT_Lm4ENS6_16DefaultPtrTraitsEiEENS_6detail16IndexBoundsCheckILm5EiEESD_Lm5ESE_iEENS8_INS9_ISB_SC_Lm4ESE_iEESI_SC_Lm5ESE_iEESJ_iiiiiiiii.num_agpr, 0
	.set _ZN2at6native12_GLOBAL__N_143conv_depthwise3d_cuda_backward_input_kernelIN3c104HalfEfLi3ELi3ELi3ELi1ELi1ELi1ELin1ELin1ELin1EEEvN5torch10headeronly6detail27GenericPackedTensorAccessorINS7_14TensorAccessorINS3_8ArrayRefIlEEKT_Lm4ENS6_16DefaultPtrTraitsEiEENS_6detail16IndexBoundsCheckILm5EiEESD_Lm5ESE_iEENS8_INS9_ISB_SC_Lm4ESE_iEESI_SC_Lm5ESE_iEESJ_iiiiiiiii.numbered_sgpr, 100
	.set _ZN2at6native12_GLOBAL__N_143conv_depthwise3d_cuda_backward_input_kernelIN3c104HalfEfLi3ELi3ELi3ELi1ELi1ELi1ELin1ELin1ELin1EEEvN5torch10headeronly6detail27GenericPackedTensorAccessorINS7_14TensorAccessorINS3_8ArrayRefIlEEKT_Lm4ENS6_16DefaultPtrTraitsEiEENS_6detail16IndexBoundsCheckILm5EiEESD_Lm5ESE_iEENS8_INS9_ISB_SC_Lm4ESE_iEESI_SC_Lm5ESE_iEESJ_iiiiiiiii.num_named_barrier, 0
	.set _ZN2at6native12_GLOBAL__N_143conv_depthwise3d_cuda_backward_input_kernelIN3c104HalfEfLi3ELi3ELi3ELi1ELi1ELi1ELin1ELin1ELin1EEEvN5torch10headeronly6detail27GenericPackedTensorAccessorINS7_14TensorAccessorINS3_8ArrayRefIlEEKT_Lm4ENS6_16DefaultPtrTraitsEiEENS_6detail16IndexBoundsCheckILm5EiEESD_Lm5ESE_iEENS8_INS9_ISB_SC_Lm4ESE_iEESI_SC_Lm5ESE_iEESJ_iiiiiiiii.private_seg_size, 28
	.set _ZN2at6native12_GLOBAL__N_143conv_depthwise3d_cuda_backward_input_kernelIN3c104HalfEfLi3ELi3ELi3ELi1ELi1ELi1ELin1ELin1ELin1EEEvN5torch10headeronly6detail27GenericPackedTensorAccessorINS7_14TensorAccessorINS3_8ArrayRefIlEEKT_Lm4ENS6_16DefaultPtrTraitsEiEENS_6detail16IndexBoundsCheckILm5EiEESD_Lm5ESE_iEENS8_INS9_ISB_SC_Lm4ESE_iEESI_SC_Lm5ESE_iEESJ_iiiiiiiii.uses_vcc, 1
	.set _ZN2at6native12_GLOBAL__N_143conv_depthwise3d_cuda_backward_input_kernelIN3c104HalfEfLi3ELi3ELi3ELi1ELi1ELi1ELin1ELin1ELin1EEEvN5torch10headeronly6detail27GenericPackedTensorAccessorINS7_14TensorAccessorINS3_8ArrayRefIlEEKT_Lm4ENS6_16DefaultPtrTraitsEiEENS_6detail16IndexBoundsCheckILm5EiEESD_Lm5ESE_iEENS8_INS9_ISB_SC_Lm4ESE_iEESI_SC_Lm5ESE_iEESJ_iiiiiiiii.uses_flat_scratch, 0
	.set _ZN2at6native12_GLOBAL__N_143conv_depthwise3d_cuda_backward_input_kernelIN3c104HalfEfLi3ELi3ELi3ELi1ELi1ELi1ELin1ELin1ELin1EEEvN5torch10headeronly6detail27GenericPackedTensorAccessorINS7_14TensorAccessorINS3_8ArrayRefIlEEKT_Lm4ENS6_16DefaultPtrTraitsEiEENS_6detail16IndexBoundsCheckILm5EiEESD_Lm5ESE_iEENS8_INS9_ISB_SC_Lm4ESE_iEESI_SC_Lm5ESE_iEESJ_iiiiiiiii.has_dyn_sized_stack, 0
	.set _ZN2at6native12_GLOBAL__N_143conv_depthwise3d_cuda_backward_input_kernelIN3c104HalfEfLi3ELi3ELi3ELi1ELi1ELi1ELin1ELin1ELin1EEEvN5torch10headeronly6detail27GenericPackedTensorAccessorINS7_14TensorAccessorINS3_8ArrayRefIlEEKT_Lm4ENS6_16DefaultPtrTraitsEiEENS_6detail16IndexBoundsCheckILm5EiEESD_Lm5ESE_iEENS8_INS9_ISB_SC_Lm4ESE_iEESI_SC_Lm5ESE_iEESJ_iiiiiiiii.has_recursion, 0
	.set _ZN2at6native12_GLOBAL__N_143conv_depthwise3d_cuda_backward_input_kernelIN3c104HalfEfLi3ELi3ELi3ELi1ELi1ELi1ELin1ELin1ELin1EEEvN5torch10headeronly6detail27GenericPackedTensorAccessorINS7_14TensorAccessorINS3_8ArrayRefIlEEKT_Lm4ENS6_16DefaultPtrTraitsEiEENS_6detail16IndexBoundsCheckILm5EiEESD_Lm5ESE_iEENS8_INS9_ISB_SC_Lm4ESE_iEESI_SC_Lm5ESE_iEESJ_iiiiiiiii.has_indirect_call, 0
	.section	.AMDGPU.csdata,"",@progbits
; Kernel info:
; codeLenInByte = 6620
; TotalNumSgprs: 106
; NumVgprs: 128
; NumAgprs: 0
; TotalNumVgprs: 128
; ScratchSize: 28
; MemoryBound: 0
; FloatMode: 240
; IeeeMode: 1
; LDSByteSize: 0 bytes/workgroup (compile time only)
; SGPRBlocks: 13
; VGPRBlocks: 15
; NumSGPRsForWavesPerEU: 106
; NumVGPRsForWavesPerEU: 128
; AccumOffset: 128
; Occupancy: 4
; WaveLimiterHint : 0
; COMPUTE_PGM_RSRC2:SCRATCH_EN: 1
; COMPUTE_PGM_RSRC2:USER_SGPR: 2
; COMPUTE_PGM_RSRC2:TRAP_HANDLER: 0
; COMPUTE_PGM_RSRC2:TGID_X_EN: 1
; COMPUTE_PGM_RSRC2:TGID_Y_EN: 0
; COMPUTE_PGM_RSRC2:TGID_Z_EN: 0
; COMPUTE_PGM_RSRC2:TIDIG_COMP_CNT: 0
; COMPUTE_PGM_RSRC3_GFX90A:ACCUM_OFFSET: 31
; COMPUTE_PGM_RSRC3_GFX90A:TG_SPLIT: 0
	.section	.text._ZN2at6native12_GLOBAL__N_143conv_depthwise3d_cuda_backward_input_kernelIN3c104HalfEfLi3ELi3ELi3ELin1ELin1ELin1ELi1ELi1ELi1EEEvN5torch10headeronly6detail27GenericPackedTensorAccessorINS7_14TensorAccessorINS3_8ArrayRefIlEEKT_Lm4ENS6_16DefaultPtrTraitsEiEENS_6detail16IndexBoundsCheckILm5EiEESD_Lm5ESE_iEENS8_INS9_ISB_SC_Lm4ESE_iEESI_SC_Lm5ESE_iEESJ_iiiiiiiii,"axG",@progbits,_ZN2at6native12_GLOBAL__N_143conv_depthwise3d_cuda_backward_input_kernelIN3c104HalfEfLi3ELi3ELi3ELin1ELin1ELin1ELi1ELi1ELi1EEEvN5torch10headeronly6detail27GenericPackedTensorAccessorINS7_14TensorAccessorINS3_8ArrayRefIlEEKT_Lm4ENS6_16DefaultPtrTraitsEiEENS_6detail16IndexBoundsCheckILm5EiEESD_Lm5ESE_iEENS8_INS9_ISB_SC_Lm4ESE_iEESI_SC_Lm5ESE_iEESJ_iiiiiiiii,comdat
	.globl	_ZN2at6native12_GLOBAL__N_143conv_depthwise3d_cuda_backward_input_kernelIN3c104HalfEfLi3ELi3ELi3ELin1ELin1ELin1ELi1ELi1ELi1EEEvN5torch10headeronly6detail27GenericPackedTensorAccessorINS7_14TensorAccessorINS3_8ArrayRefIlEEKT_Lm4ENS6_16DefaultPtrTraitsEiEENS_6detail16IndexBoundsCheckILm5EiEESD_Lm5ESE_iEENS8_INS9_ISB_SC_Lm4ESE_iEESI_SC_Lm5ESE_iEESJ_iiiiiiiii ; -- Begin function _ZN2at6native12_GLOBAL__N_143conv_depthwise3d_cuda_backward_input_kernelIN3c104HalfEfLi3ELi3ELi3ELin1ELin1ELin1ELi1ELi1ELi1EEEvN5torch10headeronly6detail27GenericPackedTensorAccessorINS7_14TensorAccessorINS3_8ArrayRefIlEEKT_Lm4ENS6_16DefaultPtrTraitsEiEENS_6detail16IndexBoundsCheckILm5EiEESD_Lm5ESE_iEENS8_INS9_ISB_SC_Lm4ESE_iEESI_SC_Lm5ESE_iEESJ_iiiiiiiii
	.p2align	8
	.type	_ZN2at6native12_GLOBAL__N_143conv_depthwise3d_cuda_backward_input_kernelIN3c104HalfEfLi3ELi3ELi3ELin1ELin1ELin1ELi1ELi1ELi1EEEvN5torch10headeronly6detail27GenericPackedTensorAccessorINS7_14TensorAccessorINS3_8ArrayRefIlEEKT_Lm4ENS6_16DefaultPtrTraitsEiEENS_6detail16IndexBoundsCheckILm5EiEESD_Lm5ESE_iEENS8_INS9_ISB_SC_Lm4ESE_iEESI_SC_Lm5ESE_iEESJ_iiiiiiiii,@function
_ZN2at6native12_GLOBAL__N_143conv_depthwise3d_cuda_backward_input_kernelIN3c104HalfEfLi3ELi3ELi3ELin1ELin1ELin1ELi1ELi1ELi1EEEvN5torch10headeronly6detail27GenericPackedTensorAccessorINS7_14TensorAccessorINS3_8ArrayRefIlEEKT_Lm4ENS6_16DefaultPtrTraitsEiEENS_6detail16IndexBoundsCheckILm5EiEESD_Lm5ESE_iEENS8_INS9_ISB_SC_Lm4ESE_iEESI_SC_Lm5ESE_iEESJ_iiiiiiiii: ; @_ZN2at6native12_GLOBAL__N_143conv_depthwise3d_cuda_backward_input_kernelIN3c104HalfEfLi3ELi3ELi3ELin1ELin1ELin1ELi1ELi1ELi1EEEvN5torch10headeronly6detail27GenericPackedTensorAccessorINS7_14TensorAccessorINS3_8ArrayRefIlEEKT_Lm4ENS6_16DefaultPtrTraitsEiEENS_6detail16IndexBoundsCheckILm5EiEESD_Lm5ESE_iEENS8_INS9_ISB_SC_Lm4ESE_iEESI_SC_Lm5ESE_iEESJ_iiiiiiiii
; %bb.0:
	s_load_dwordx4 s[12:15], s[0:1], 0x38
	s_load_dwordx2 s[28:29], s[0:1], 0x48
	s_load_dword s4, s[0:1], 0xc4
	v_mov_b32_e32 v3, s2
	v_mov_b32_e32 v1, 0
	s_waitcnt lgkmcnt(0)
	s_abs_i32 s33, s13
	v_cvt_f32_u32_e32 v2, s33
	s_add_u32 s2, s0, 0xb8
	s_mul_i32 s30, s29, s12
	s_addc_u32 s3, s1, 0
	v_rcp_iflag_f32_e32 v2, v2
	s_and_b32 s4, s4, 0xffff
	s_ashr_i32 s31, s30, 31
	v_mad_u64_u32 v[0:1], s[6:7], s4, v3, v[0:1]
	v_mul_f32_e32 v2, 0x4f7ffffe, v2
	v_cvt_u32_f32_e32 v2, v2
	v_cmp_gt_i64_e32 vcc, s[30:31], v[0:1]
	v_readfirstlane_b32 s5, v2
	s_and_saveexec_b64 s[6:7], vcc
	s_cbranch_execz .LBB24_62
; %bb.1:
	s_load_dwordx4 s[16:19], s[0:1], 0xc
	s_load_dwordx2 s[6:7], s[0:1], 0x0
	s_sub_i32 s8, 0, s33
                                        ; implicit-def: $vgpr127 : SGPR spill to VGPR lane
	s_mul_i32 s9, s8, s5
	s_mul_hi_u32 s9, s5, s9
	s_add_i32 s5, s5, s9
	s_waitcnt lgkmcnt(0)
	v_writelane_b32 v127, s6, 0
	s_ashr_i32 s12, s13, 31
                                        ; kill: killed $sgpr2 killed $sgpr3
	s_load_dwordx2 s[38:39], s[0:1], 0xac
	v_writelane_b32 v127, s7, 1
	s_abs_i32 s7, s16
	s_mul_hi_u32 s5, s7, s5
	s_mul_i32 s9, s5, s33
	s_ashr_i32 s6, s16, 31
	s_sub_i32 s7, s7, s9
	s_xor_b32 s6, s6, s12
	s_add_i32 s9, s5, 1
	s_sub_i32 s10, s7, s33
	s_cmp_ge_u32 s7, s33
	s_cselect_b32 s5, s9, s5
	s_cselect_b32 s7, s10, s7
	s_add_i32 s9, s5, 1
	s_cmp_ge_u32 s7, s33
	s_cselect_b32 s5, s9, s5
	s_xor_b32 s5, s5, s6
	s_sub_i32 s16, s5, s6
	s_cmp_gt_i32 s16, 0
	s_load_dword s5, s[2:3], 0x0
	s_load_dwordx4 s[20:23], s[0:1], 0x9c
	s_load_dword s6, s[0:1], 0x7c
	s_cselect_b64 s[2:3], -1, 0
	s_abs_i32 s97, s28
	v_cvt_f32_u32_e32 v3, s97
	s_load_dwordx4 s[24:27], s[0:1], 0x50
	s_waitcnt lgkmcnt(0)
	v_writelane_b32 v127, s6, 2
	s_load_dwordx2 s[6:7], s[0:1], 0x60
	v_rcp_iflag_f32_e32 v3, v3
	s_load_dwordx2 s[40:41], s[0:1], 0x1c
	s_load_dwordx2 s[42:43], s[0:1], 0x30
                                        ; kill: killed $sgpr0 killed $sgpr1
	s_lshl_b32 s0, s39, 1
	s_abs_i32 s96, s15
	v_mul_f32_e32 v3, 0x4f7ffffe, v3
	v_cvt_u32_f32_e32 v3, v3
	s_waitcnt lgkmcnt(0)
	v_writelane_b32 v127, s6, 3
	v_cvt_f32_u32_e32 v4, s96
	s_abs_i32 s44, s14
	v_writelane_b32 v127, s7, 4
	v_writelane_b32 v127, s0, 5
	s_sub_i32 s0, 0, s97
	v_mul_lo_u32 v5, s0, v3
	v_mul_hi_u32 v5, v3, v5
	v_add_u32_e32 v3, v3, v5
	scratch_store_dword off, v3, off        ; 4-byte Folded Spill
	v_cvt_f32_u32_e32 v3, s44
	v_rcp_iflag_f32_e32 v4, v4
	s_sub_i32 s0, 0, s96
	s_mov_b32 s35, 0
	v_rcp_iflag_f32_e32 v3, v3
	v_mul_f32_e32 v4, 0x4f7ffffe, v4
	v_cvt_u32_f32_e32 v4, v4
	s_mul_i32 s34, s5, s4
	v_mul_f32_e32 v3, 0x4f7ffffe, v3
	v_cvt_u32_f32_e32 v3, v3
	v_mul_lo_u32 v5, s0, v4
	v_mul_hi_u32 v5, v4, v5
	v_add_u32_e32 v4, v4, v5
	s_sub_i32 s0, 0, s44
	scratch_store_dword off, v4, off offset:4 ; 4-byte Folded Spill
	v_mul_lo_u32 v4, s0, v3
	v_mul_hi_u32 v4, v3, v4
	v_add_u32_e32 v66, v3, v4
	v_mul_lo_u32 v3, s8, v2
	v_mul_hi_u32 v3, v2, v3
	v_add_u32_e32 v67, v2, v3
	v_cndmask_b32_e64 v2, 0, 1, s[2:3]
	s_lshl_b32 s99, s38, 1
	s_lshl_b32 s36, s23, 1
	s_ashr_i32 s37, s28, 31
	s_ashr_i32 s45, s15, 31
	;; [unrolled: 1-line block ×3, first 2 shown]
	s_mov_b64 s[46:47], 0
	v_cmp_ne_u32_e64 s[0:1], 1, v2
	s_branch .LBB24_4
.LBB24_2:                               ;   in Loop: Header=BB24_4 Depth=1
	s_or_b64 exec, exec, s[92:93]
	v_cvt_f16_f32_e32 v2, v75
.LBB24_3:                               ;   in Loop: Header=BB24_4 Depth=1
	v_mul_lo_u32 v4, v72, s29
	v_ashrrev_i32_e32 v5, 31, v4
	v_mul_lo_u32 v6, s24, v71
	v_lshl_add_u64 v[4:5], v[4:5], 1, s[42:43]
	v_ashrrev_i32_e32 v7, 31, v6
	v_lshl_add_u64 v[4:5], v[6:7], 1, v[4:5]
	v_mul_lo_u32 v6, s25, v70
	v_ashrrev_i32_e32 v7, 31, v6
	v_lshl_add_u64 v[4:5], v[6:7], 1, v[4:5]
	v_mul_lo_u32 v6, s26, v69
	;; [unrolled: 3-line block ×3, first 2 shown]
	v_lshl_add_u64 v[0:1], v[0:1], 0, s[34:35]
	v_ashrrev_i32_e32 v7, 31, v6
	v_cmp_le_i64_e32 vcc, s[30:31], v[0:1]
	v_lshl_add_u64 v[4:5], v[6:7], 1, v[4:5]
	s_or_b64 s[46:47], vcc, s[46:47]
	global_store_short v[4:5], v2, off
	s_andn2_b64 exec, exec, s[46:47]
	s_cbranch_execz .LBB24_62
.LBB24_4:                               ; =>This Loop Header: Depth=1
                                        ;     Child Loop BB24_7 Depth 2
	scratch_load_dword v4, off, off         ; 4-byte Folded Reload
	v_sub_u32_e32 v3, 0, v0
	v_max_i32_e32 v3, v0, v3
	v_ashrrev_i32_e32 v2, 31, v0
	v_xor_b32_e32 v2, s37, v2
	s_waitcnt vmcnt(0)
	v_mul_hi_u32 v4, v3, v4
	v_mul_lo_u32 v5, v4, s97
	v_sub_u32_e32 v3, v3, v5
	v_add_u32_e32 v5, 1, v4
	v_cmp_le_u32_e32 vcc, s97, v3
	s_nop 1
	v_cndmask_b32_e32 v4, v4, v5, vcc
	v_subrev_u32_e32 v5, s97, v3
	v_cndmask_b32_e32 v3, v3, v5, vcc
	v_add_u32_e32 v5, 1, v4
	v_cmp_le_u32_e32 vcc, s97, v3
	s_nop 1
	v_cndmask_b32_e32 v3, v4, v5, vcc
	scratch_load_dword v5, off, off offset:4 ; 4-byte Folded Reload
	v_xor_b32_e32 v3, v3, v2
	v_sub_u32_e32 v2, v3, v2
	v_sub_u32_e32 v4, 0, v2
	v_max_i32_e32 v4, v2, v4
	v_mul_lo_u32 v3, v2, s28
	v_sub_u32_e32 v68, v0, v3
	v_ashrrev_i32_e32 v3, 31, v2
	v_xor_b32_e32 v3, s45, v3
	s_waitcnt vmcnt(0)
	v_mul_hi_u32 v5, v4, v5
	v_mul_lo_u32 v6, v5, s96
	v_sub_u32_e32 v4, v4, v6
	v_add_u32_e32 v6, 1, v5
	v_cmp_le_u32_e32 vcc, s96, v4
	s_nop 1
	v_cndmask_b32_e32 v5, v5, v6, vcc
	v_subrev_u32_e32 v6, s96, v4
	v_cndmask_b32_e32 v4, v4, v6, vcc
	v_add_u32_e32 v6, 1, v5
	v_cmp_le_u32_e32 vcc, s96, v4
	s_nop 1
	v_cndmask_b32_e32 v4, v5, v6, vcc
	v_xor_b32_e32 v4, v4, v3
	v_sub_u32_e32 v3, v4, v3
	v_mul_lo_u32 v4, v3, s15
	v_sub_u32_e32 v69, v2, v4
	v_sub_u32_e32 v4, 0, v3
	v_max_i32_e32 v4, v3, v4
	v_mul_hi_u32 v5, v4, v66
	v_mul_lo_u32 v6, v5, s44
	v_sub_u32_e32 v4, v4, v6
	v_add_u32_e32 v6, 1, v5
	v_cmp_le_u32_e32 vcc, s44, v4
	v_ashrrev_i32_e32 v2, 31, v3
	v_xor_b32_e32 v2, s98, v2
	v_cndmask_b32_e32 v5, v5, v6, vcc
	v_subrev_u32_e32 v6, s44, v4
	v_cndmask_b32_e32 v4, v4, v6, vcc
	v_add_u32_e32 v6, 1, v5
	v_cmp_le_u32_e32 vcc, s44, v4
	s_nop 1
	v_cndmask_b32_e32 v4, v5, v6, vcc
	v_xor_b32_e32 v4, v4, v2
	v_sub_u32_e32 v2, v4, v2
	v_mul_lo_u32 v4, v2, s14
	v_sub_u32_e32 v70, v3, v4
	v_sub_u32_e32 v4, 0, v2
	v_max_i32_e32 v4, v2, v4
	v_mul_hi_u32 v5, v4, v67
	v_mul_lo_u32 v6, v5, s33
	v_sub_u32_e32 v4, v4, v6
	v_add_u32_e32 v6, 1, v5
	v_cmp_le_u32_e32 vcc, s33, v4
	v_ashrrev_i32_e32 v3, 31, v2
	v_xor_b32_e32 v3, s12, v3
	v_cndmask_b32_e32 v5, v5, v6, vcc
	v_subrev_u32_e32 v6, s33, v4
	v_cndmask_b32_e32 v4, v4, v6, vcc
	v_add_u32_e32 v6, 1, v5
	v_cmp_le_u32_e32 vcc, s33, v4
	s_nop 1
	v_cndmask_b32_e32 v4, v5, v6, vcc
	v_xor_b32_e32 v4, v4, v3
	v_sub_u32_e32 v72, v4, v3
	v_mul_lo_u32 v3, v72, s13
	s_and_b64 vcc, exec, s[0:1]
	v_sub_u32_e32 v71, v2, v3
	s_cbranch_vccnz .LBB24_61
; %bb.5:                                ;   in Loop: Header=BB24_4 Depth=1
	v_add_u32_e32 v3, s21, v69
	v_add_u32_e32 v37, s22, v68
	;; [unrolled: 1-line block ×3, first 2 shown]
	v_or_b32_e32 v8, v37, v3
	v_cmp_gt_i32_e64 s[2:3], s18, v3
	v_or_b32_e32 v11, v8, v2
	v_cmp_gt_i32_e64 s[6:7], s19, v37
	v_subrev_u32_e32 v43, s39, v37
	v_cmp_lt_i32_e64 s[4:5], -1, v11
	s_and_b64 s[76:77], s[6:7], s[2:3]
	v_or_b32_e32 v13, v43, v3
	v_cmp_gt_i32_e32 vcc, s17, v2
	s_and_b64 s[4:5], s[76:77], s[4:5]
	v_or_b32_e32 v15, v13, v2
	v_cmp_gt_i32_e64 s[8:9], s19, v43
	s_and_b64 s[48:49], s[4:5], vcc
	v_cmp_lt_i32_e64 s[4:5], -1, v15
	s_and_b64 s[78:79], s[8:9], s[2:3]
	s_and_b64 s[4:5], s[78:79], s[4:5]
	s_and_b64 s[50:51], s[4:5], vcc
	v_readlane_b32 s4, v127, 5
	v_subrev_u32_e32 v7, s38, v3
	v_or_b32_e32 v6, v37, v7
	v_subrev_u32_e32 v58, s4, v37
	v_or_b32_e32 v17, v58, v3
	v_or_b32_e32 v19, v17, v2
	v_cmp_gt_i32_e64 s[10:11], s19, v58
	v_cmp_lt_i32_e64 s[4:5], -1, v19
	s_and_b64 s[80:81], s[10:11], s[2:3]
	s_and_b64 s[2:3], s[80:81], s[4:5]
	s_and_b64 s[52:53], s[2:3], vcc
	v_cmp_gt_i32_e64 s[2:3], s18, v7
	v_or_b32_e32 v20, v6, v2
	v_or_b32_e32 v12, v43, v7
	v_cmp_lt_i32_e64 s[4:5], -1, v20
	s_and_b64 s[82:83], s[6:7], s[2:3]
	s_and_b64 s[4:5], s[82:83], s[4:5]
	v_or_b32_e32 v21, v12, v2
	v_or_b32_e32 v16, v58, v7
	s_and_b64 s[54:55], s[4:5], vcc
	v_cmp_lt_i32_e64 s[4:5], -1, v21
	s_and_b64 s[84:85], s[8:9], s[2:3]
	s_and_b64 s[4:5], s[84:85], s[4:5]
	v_or_b32_e32 v22, v16, v2
	v_subrev_u32_e32 v5, s99, v3
	s_and_b64 s[56:57], s[4:5], vcc
	v_cmp_lt_i32_e64 s[4:5], -1, v22
	s_and_b64 s[86:87], s[10:11], s[2:3]
	v_or_b32_e32 v4, v37, v5
	s_and_b64 s[2:3], s[86:87], s[4:5]
	s_and_b64 s[58:59], s[2:3], vcc
	v_cmp_gt_i32_e64 s[2:3], s18, v5
	v_or_b32_e32 v23, v4, v2
	v_or_b32_e32 v11, v43, v5
	v_cmp_lt_i32_e64 s[4:5], -1, v23
	s_and_b64 s[88:89], s[6:7], s[2:3]
	s_and_b64 s[4:5], s[88:89], s[4:5]
	v_or_b32_e32 v24, v11, v2
	v_or_b32_e32 v15, v58, v5
	s_and_b64 s[6:7], s[4:5], vcc
	v_cmp_lt_i32_e64 s[4:5], -1, v24
	s_and_b64 s[90:91], s[8:9], s[2:3]
	s_and_b64 s[4:5], s[90:91], s[4:5]
	v_or_b32_e32 v25, v15, v2
	v_subrev_u32_e32 v9, s23, v2
	s_and_b64 s[8:9], s[4:5], vcc
	v_cmp_lt_i32_e64 s[4:5], -1, v25
	s_and_b64 s[92:93], s[10:11], s[2:3]
	v_or_b32_e32 v10, v8, v9
	s_and_b64 s[2:3], s[92:93], s[4:5]
	s_and_b64 s[4:5], s[2:3], vcc
	v_cmp_lt_i32_e64 s[2:3], -1, v10
	v_or_b32_e32 v14, v13, v9
	v_cmp_gt_i32_e32 vcc, s17, v9
	s_and_b64 s[2:3], s[76:77], s[2:3]
	s_and_b64 s[10:11], s[2:3], vcc
	v_cmp_lt_i32_e64 s[2:3], -1, v14
	v_or_b32_e32 v18, v17, v9
	s_and_b64 s[2:3], s[78:79], s[2:3]
	s_and_b64 s[60:61], s[2:3], vcc
	v_cmp_lt_i32_e64 s[2:3], -1, v18
	v_or_b32_e32 v19, v6, v9
	;; [unrolled: 4-line block ×7, first 2 shown]
	s_and_b64 s[2:3], s[90:91], s[2:3]
	s_and_b64 s[72:73], s[2:3], vcc
	v_cmp_lt_i32_e64 s[2:3], -1, v24
	v_subrev_u32_e32 v19, s36, v2
	s_and_b64 s[2:3], s[92:93], s[2:3]
	v_or_b32_e32 v8, v8, v19
	s_and_b64 s[74:75], s[2:3], vcc
	v_cmp_lt_i32_e32 vcc, -1, v8
	v_or_b32_e32 v8, v13, v19
	s_and_b64 s[76:77], s[76:77], vcc
	v_cmp_lt_i32_e32 vcc, -1, v8
	;; [unrolled: 3-line block ×7, first 2 shown]
	v_or_b32_e32 v4, v11, v19
	v_mul_lo_u32 v11, v2, s18
	v_add_u32_e32 v2, v3, v11
	v_add_u32_e32 v8, v7, v11
	;; [unrolled: 1-line block ×3, first 2 shown]
	v_mul_lo_u32 v11, v11, s19
	v_mul_lo_u32 v9, v9, s18
	v_add_u32_e32 v14, v37, v11
	v_add_u32_e32 v16, v43, v11
	;; [unrolled: 1-line block ×4, first 2 shown]
	v_mul_lo_u32 v11, v11, s19
	v_add_u32_e32 v20, v37, v11
	v_add_u32_e32 v22, v43, v11
	;; [unrolled: 1-line block ×4, first 2 shown]
	v_mul_lo_u32 v11, v11, s19
	v_mul_lo_u32 v73, v71, s16
	v_readlane_b32 s2, v127, 2
	v_add_u32_e32 v26, v37, v11
	v_add_u32_e32 v28, v43, v11
	;; [unrolled: 1-line block ×3, first 2 shown]
	v_mul_lo_u32 v11, v19, s18
	v_mul_lo_u32 v50, s2, v73
	v_add_u32_e32 v3, v3, v11
	v_readlane_b32 s94, v127, 3
	v_mul_lo_u32 v39, v3, s19
	v_add_u32_e32 v3, v7, v11
	v_ashrrev_i32_e32 v51, 31, v50
	v_readlane_b32 s95, v127, 4
	v_mul_lo_u32 v52, s40, v72
	v_or_b32_e32 v13, v15, v19
	v_add_u32_e32 v9, v5, v9
	v_mul_lo_u32 v45, v3, s19
	v_add_u32_e32 v3, v5, v11
	v_lshl_add_u64 v[50:51], v[50:51], 1, s[94:95]
	v_readlane_b32 s94, v127, 0
	s_and_b64 s[88:89], s[88:89], vcc
	v_cmp_lt_i32_e32 vcc, -1, v4
	v_mul_lo_u32 v6, v2, s19
	v_mul_lo_u32 v12, v8, s19
	;; [unrolled: 1-line block ×4, first 2 shown]
	v_cmp_lt_i32_e64 s[2:3], -1, v13
	v_ashrrev_i32_e32 v53, 31, v52
	v_readlane_b32 s95, v127, 1
	s_and_b64 s[90:91], s[90:91], vcc
	v_add_u32_e32 v2, v37, v6
	v_add_u32_e32 v4, v43, v6
	;; [unrolled: 1-line block ×13, first 2 shown]
	v_cmp_gt_i32_e32 vcc, s17, v19
	v_add_u32_e32 v46, v58, v9
	v_add_u32_e32 v48, v43, v59
	v_lshl_add_u64 v[52:53], v[52:53], 1, s[94:95]
	v_add_u32_e32 v54, v37, v39
	v_add_u32_e32 v56, v43, v45
	s_and_b64 s[2:3], s[92:93], s[2:3]
	v_add_u32_e32 v58, v58, v59
	s_mul_i32 s94, s41, s16
	v_ashrrev_i32_e32 v3, 31, v2
	v_ashrrev_i32_e32 v5, 31, v4
	v_ashrrev_i32_e32 v7, 31, v6
	v_ashrrev_i32_e32 v9, 31, v8
	v_ashrrev_i32_e32 v11, 31, v10
	v_ashrrev_i32_e32 v13, 31, v12
	v_ashrrev_i32_e32 v15, 31, v14
	v_ashrrev_i32_e32 v17, 31, v16
	v_ashrrev_i32_e32 v19, 31, v18
	v_ashrrev_i32_e32 v21, 31, v20
	v_ashrrev_i32_e32 v23, 31, v22
	v_ashrrev_i32_e32 v25, 31, v24
	v_ashrrev_i32_e32 v27, 31, v26
	v_ashrrev_i32_e32 v29, 31, v28
	v_ashrrev_i32_e32 v31, 31, v30
	v_ashrrev_i32_e32 v33, 31, v32
	v_ashrrev_i32_e32 v35, 31, v34
	v_ashrrev_i32_e32 v47, 31, v46
	s_and_b64 s[76:77], s[76:77], vcc
	v_ashrrev_i32_e32 v55, 31, v54
	s_and_b64 s[78:79], s[78:79], vcc
	v_ashrrev_i32_e32 v37, 31, v36
	;; [unrolled: 2-line block ×9, first 2 shown]
	s_mov_b64 s[92:93], 0
	v_add_u32_e32 v74, s16, v73
	v_mov_b32_e32 v75, 0
	v_mul_lo_u32 v60, s94, v71
	s_branch .LBB24_7
.LBB24_6:                               ;   in Loop: Header=BB24_7 Depth=2
	s_or_b64 exec, exec, s[94:95]
	s_waitcnt vmcnt(26)
	v_fma_mix_f32 v61, v61, v76, v75 op_sel_hi:[0,1,0]
	s_waitcnt vmcnt(25)
	v_fma_mix_f32 v61, v79, v77, v61 op_sel_hi:[0,1,0]
	;; [unrolled: 2-line block ×25, first 2 shown]
	v_add_u32_e32 v73, 1, v73
	s_waitcnt vmcnt(1)
	v_fma_mix_f32 v61, v64, v125, v61 op_sel_hi:[0,1,0]
	v_cmp_ge_i32_e32 vcc, v73, v74
	s_waitcnt vmcnt(0)
	v_fma_mix_f32 v75, v126, v65, v61 op_sel_hi:[0,1,0]
	v_lshl_add_u64 v[50:51], v[50:51], 0, 54
	s_or_b64 s[92:93], vcc, s[92:93]
	v_add_u32_e32 v60, s41, v60
	s_andn2_b64 exec, exec, s[92:93]
	s_cbranch_execz .LBB24_2
.LBB24_7:                               ;   Parent Loop BB24_4 Depth=1
                                        ; =>  This Inner Loop Header: Depth=2
	global_load_ushort v76, v[50:51], off
	v_ashrrev_i32_e32 v61, 31, v60
	v_lshl_add_u64 v[62:63], v[60:61], 1, v[52:53]
	v_mov_b32_e32 v61, 0
	s_and_saveexec_b64 s[94:95], s[48:49]
	s_cbranch_execz .LBB24_9
; %bb.8:                                ;   in Loop: Header=BB24_7 Depth=2
	v_lshl_add_u64 v[64:65], v[2:3], 1, v[62:63]
	global_load_ushort v61, v[64:65], off
	s_waitcnt vmcnt(0)
	v_cvt_f32_f16_e32 v61, v61
.LBB24_9:                               ;   in Loop: Header=BB24_7 Depth=2
	s_or_b64 exec, exec, s[94:95]
	global_load_ushort v77, v[50:51], off offset:2
	v_mov_b32_e32 v78, 0
	v_mov_b32_e32 v79, 0
	s_and_saveexec_b64 s[94:95], s[50:51]
	s_cbranch_execz .LBB24_11
; %bb.10:                               ;   in Loop: Header=BB24_7 Depth=2
	v_lshl_add_u64 v[64:65], v[4:5], 1, v[62:63]
	global_load_ushort v64, v[64:65], off
	s_waitcnt vmcnt(0)
	v_cvt_f32_f16_e32 v79, v64
.LBB24_11:                              ;   in Loop: Header=BB24_7 Depth=2
	s_or_b64 exec, exec, s[94:95]
	global_load_ushort v80, v[50:51], off offset:4
	s_and_saveexec_b64 s[94:95], s[52:53]
	s_cbranch_execz .LBB24_13
; %bb.12:                               ;   in Loop: Header=BB24_7 Depth=2
	v_lshl_add_u64 v[64:65], v[6:7], 1, v[62:63]
	global_load_ushort v64, v[64:65], off
	s_waitcnt vmcnt(0)
	v_cvt_f32_f16_e32 v78, v64
.LBB24_13:                              ;   in Loop: Header=BB24_7 Depth=2
	s_or_b64 exec, exec, s[94:95]
	global_load_ushort v81, v[50:51], off offset:6
	v_mov_b32_e32 v82, 0
	v_mov_b32_e32 v83, 0
	s_and_saveexec_b64 s[94:95], s[54:55]
	s_cbranch_execz .LBB24_15
; %bb.14:                               ;   in Loop: Header=BB24_7 Depth=2
	v_lshl_add_u64 v[64:65], v[8:9], 1, v[62:63]
	global_load_ushort v64, v[64:65], off
	s_waitcnt vmcnt(0)
	v_cvt_f32_f16_e32 v83, v64
.LBB24_15:                              ;   in Loop: Header=BB24_7 Depth=2
	s_or_b64 exec, exec, s[94:95]
	global_load_ushort v84, v[50:51], off offset:8
	s_and_saveexec_b64 s[94:95], s[56:57]
	s_cbranch_execz .LBB24_17
; %bb.16:                               ;   in Loop: Header=BB24_7 Depth=2
	v_lshl_add_u64 v[64:65], v[10:11], 1, v[62:63]
	global_load_ushort v64, v[64:65], off
	s_waitcnt vmcnt(0)
	v_cvt_f32_f16_e32 v82, v64
.LBB24_17:                              ;   in Loop: Header=BB24_7 Depth=2
	s_or_b64 exec, exec, s[94:95]
	global_load_ushort v85, v[50:51], off offset:10
	v_mov_b32_e32 v86, 0
	v_mov_b32_e32 v87, 0
	s_and_saveexec_b64 s[94:95], s[58:59]
	s_cbranch_execz .LBB24_19
; %bb.18:                               ;   in Loop: Header=BB24_7 Depth=2
	v_lshl_add_u64 v[64:65], v[12:13], 1, v[62:63]
	global_load_ushort v64, v[64:65], off
	s_waitcnt vmcnt(0)
	v_cvt_f32_f16_e32 v87, v64
.LBB24_19:                              ;   in Loop: Header=BB24_7 Depth=2
	s_or_b64 exec, exec, s[94:95]
	global_load_ushort v88, v[50:51], off offset:12
	s_and_saveexec_b64 s[94:95], s[6:7]
	s_cbranch_execz .LBB24_21
; %bb.20:                               ;   in Loop: Header=BB24_7 Depth=2
	v_lshl_add_u64 v[64:65], v[14:15], 1, v[62:63]
	global_load_ushort v64, v[64:65], off
	s_waitcnt vmcnt(0)
	v_cvt_f32_f16_e32 v86, v64
.LBB24_21:                              ;   in Loop: Header=BB24_7 Depth=2
	s_or_b64 exec, exec, s[94:95]
	global_load_ushort v89, v[50:51], off offset:14
	v_mov_b32_e32 v90, 0
	v_mov_b32_e32 v91, 0
	s_and_saveexec_b64 s[94:95], s[8:9]
	s_cbranch_execz .LBB24_23
; %bb.22:                               ;   in Loop: Header=BB24_7 Depth=2
	v_lshl_add_u64 v[64:65], v[16:17], 1, v[62:63]
	global_load_ushort v64, v[64:65], off
	s_waitcnt vmcnt(0)
	v_cvt_f32_f16_e32 v91, v64
.LBB24_23:                              ;   in Loop: Header=BB24_7 Depth=2
	s_or_b64 exec, exec, s[94:95]
	global_load_ushort v92, v[50:51], off offset:16
	s_and_saveexec_b64 s[94:95], s[4:5]
	s_cbranch_execz .LBB24_25
; %bb.24:                               ;   in Loop: Header=BB24_7 Depth=2
	v_lshl_add_u64 v[64:65], v[18:19], 1, v[62:63]
	global_load_ushort v64, v[64:65], off
	s_waitcnt vmcnt(0)
	v_cvt_f32_f16_e32 v90, v64
.LBB24_25:                              ;   in Loop: Header=BB24_7 Depth=2
	s_or_b64 exec, exec, s[94:95]
	global_load_ushort v93, v[50:51], off offset:18
	v_mov_b32_e32 v94, 0
	v_mov_b32_e32 v95, 0
	s_and_saveexec_b64 s[94:95], s[10:11]
	s_cbranch_execz .LBB24_27
; %bb.26:                               ;   in Loop: Header=BB24_7 Depth=2
	v_lshl_add_u64 v[64:65], v[20:21], 1, v[62:63]
	global_load_ushort v64, v[64:65], off
	s_waitcnt vmcnt(0)
	v_cvt_f32_f16_e32 v95, v64
.LBB24_27:                              ;   in Loop: Header=BB24_7 Depth=2
	s_or_b64 exec, exec, s[94:95]
	global_load_ushort v96, v[50:51], off offset:20
	s_and_saveexec_b64 s[94:95], s[60:61]
	s_cbranch_execz .LBB24_29
; %bb.28:                               ;   in Loop: Header=BB24_7 Depth=2
	v_lshl_add_u64 v[64:65], v[22:23], 1, v[62:63]
	global_load_ushort v64, v[64:65], off
	s_waitcnt vmcnt(0)
	v_cvt_f32_f16_e32 v94, v64
.LBB24_29:                              ;   in Loop: Header=BB24_7 Depth=2
	s_or_b64 exec, exec, s[94:95]
	global_load_ushort v97, v[50:51], off offset:22
	v_mov_b32_e32 v98, 0
	v_mov_b32_e32 v99, 0
	s_and_saveexec_b64 s[94:95], s[62:63]
	s_cbranch_execz .LBB24_31
; %bb.30:                               ;   in Loop: Header=BB24_7 Depth=2
	v_lshl_add_u64 v[64:65], v[24:25], 1, v[62:63]
	global_load_ushort v64, v[64:65], off
	s_waitcnt vmcnt(0)
	v_cvt_f32_f16_e32 v99, v64
.LBB24_31:                              ;   in Loop: Header=BB24_7 Depth=2
	s_or_b64 exec, exec, s[94:95]
	global_load_ushort v100, v[50:51], off offset:24
	s_and_saveexec_b64 s[94:95], s[64:65]
	s_cbranch_execz .LBB24_33
; %bb.32:                               ;   in Loop: Header=BB24_7 Depth=2
	v_lshl_add_u64 v[64:65], v[26:27], 1, v[62:63]
	global_load_ushort v64, v[64:65], off
	s_waitcnt vmcnt(0)
	v_cvt_f32_f16_e32 v98, v64
.LBB24_33:                              ;   in Loop: Header=BB24_7 Depth=2
	s_or_b64 exec, exec, s[94:95]
	global_load_ushort v101, v[50:51], off offset:26
	v_mov_b32_e32 v102, 0
	v_mov_b32_e32 v103, 0
	s_and_saveexec_b64 s[94:95], s[66:67]
	s_cbranch_execz .LBB24_35
; %bb.34:                               ;   in Loop: Header=BB24_7 Depth=2
	v_lshl_add_u64 v[64:65], v[28:29], 1, v[62:63]
	global_load_ushort v64, v[64:65], off
	s_waitcnt vmcnt(0)
	v_cvt_f32_f16_e32 v103, v64
.LBB24_35:                              ;   in Loop: Header=BB24_7 Depth=2
	s_or_b64 exec, exec, s[94:95]
	global_load_ushort v104, v[50:51], off offset:28
	s_and_saveexec_b64 s[94:95], s[68:69]
	s_cbranch_execz .LBB24_37
; %bb.36:                               ;   in Loop: Header=BB24_7 Depth=2
	v_lshl_add_u64 v[64:65], v[30:31], 1, v[62:63]
	global_load_ushort v64, v[64:65], off
	s_waitcnt vmcnt(0)
	v_cvt_f32_f16_e32 v102, v64
.LBB24_37:                              ;   in Loop: Header=BB24_7 Depth=2
	s_or_b64 exec, exec, s[94:95]
	global_load_ushort v105, v[50:51], off offset:30
	v_mov_b32_e32 v106, 0
	v_mov_b32_e32 v107, 0
	s_and_saveexec_b64 s[94:95], s[70:71]
	s_cbranch_execz .LBB24_39
; %bb.38:                               ;   in Loop: Header=BB24_7 Depth=2
	v_lshl_add_u64 v[64:65], v[32:33], 1, v[62:63]
	global_load_ushort v64, v[64:65], off
	s_waitcnt vmcnt(0)
	v_cvt_f32_f16_e32 v107, v64
.LBB24_39:                              ;   in Loop: Header=BB24_7 Depth=2
	s_or_b64 exec, exec, s[94:95]
	global_load_ushort v108, v[50:51], off offset:32
	s_and_saveexec_b64 s[94:95], s[72:73]
	s_cbranch_execz .LBB24_41
; %bb.40:                               ;   in Loop: Header=BB24_7 Depth=2
	v_lshl_add_u64 v[64:65], v[34:35], 1, v[62:63]
	global_load_ushort v64, v[64:65], off
	s_waitcnt vmcnt(0)
	v_cvt_f32_f16_e32 v106, v64
.LBB24_41:                              ;   in Loop: Header=BB24_7 Depth=2
	s_or_b64 exec, exec, s[94:95]
	global_load_ushort v109, v[50:51], off offset:34
	v_mov_b32_e32 v110, 0
	v_mov_b32_e32 v111, 0
	s_and_saveexec_b64 s[94:95], s[74:75]
	s_cbranch_execz .LBB24_43
; %bb.42:                               ;   in Loop: Header=BB24_7 Depth=2
	v_lshl_add_u64 v[64:65], v[46:47], 1, v[62:63]
	global_load_ushort v64, v[64:65], off
	s_waitcnt vmcnt(0)
	v_cvt_f32_f16_e32 v111, v64
.LBB24_43:                              ;   in Loop: Header=BB24_7 Depth=2
	s_or_b64 exec, exec, s[94:95]
	global_load_ushort v112, v[50:51], off offset:36
	s_and_saveexec_b64 s[94:95], s[76:77]
	s_cbranch_execz .LBB24_45
; %bb.44:                               ;   in Loop: Header=BB24_7 Depth=2
	v_lshl_add_u64 v[64:65], v[54:55], 1, v[62:63]
	global_load_ushort v64, v[64:65], off
	s_waitcnt vmcnt(0)
	v_cvt_f32_f16_e32 v110, v64
.LBB24_45:                              ;   in Loop: Header=BB24_7 Depth=2
	s_or_b64 exec, exec, s[94:95]
	global_load_ushort v113, v[50:51], off offset:38
	v_mov_b32_e32 v114, 0
	v_mov_b32_e32 v115, 0
	s_and_saveexec_b64 s[94:95], s[78:79]
	s_cbranch_execz .LBB24_47
; %bb.46:                               ;   in Loop: Header=BB24_7 Depth=2
	v_lshl_add_u64 v[64:65], v[36:37], 1, v[62:63]
	global_load_ushort v64, v[64:65], off
	s_waitcnt vmcnt(0)
	v_cvt_f32_f16_e32 v115, v64
.LBB24_47:                              ;   in Loop: Header=BB24_7 Depth=2
	s_or_b64 exec, exec, s[94:95]
	global_load_ushort v116, v[50:51], off offset:40
	s_and_saveexec_b64 s[94:95], s[80:81]
	s_cbranch_execz .LBB24_49
; %bb.48:                               ;   in Loop: Header=BB24_7 Depth=2
	v_lshl_add_u64 v[64:65], v[38:39], 1, v[62:63]
	global_load_ushort v64, v[64:65], off
	s_waitcnt vmcnt(0)
	v_cvt_f32_f16_e32 v114, v64
.LBB24_49:                              ;   in Loop: Header=BB24_7 Depth=2
	s_or_b64 exec, exec, s[94:95]
	global_load_ushort v117, v[50:51], off offset:42
	v_mov_b32_e32 v118, 0
	v_mov_b32_e32 v119, 0
	s_and_saveexec_b64 s[94:95], s[82:83]
	s_cbranch_execz .LBB24_51
; %bb.50:                               ;   in Loop: Header=BB24_7 Depth=2
	v_lshl_add_u64 v[64:65], v[40:41], 1, v[62:63]
	global_load_ushort v64, v[64:65], off
	s_waitcnt vmcnt(0)
	v_cvt_f32_f16_e32 v119, v64
.LBB24_51:                              ;   in Loop: Header=BB24_7 Depth=2
	s_or_b64 exec, exec, s[94:95]
	global_load_ushort v120, v[50:51], off offset:44
	s_and_saveexec_b64 s[94:95], s[84:85]
	s_cbranch_execz .LBB24_53
; %bb.52:                               ;   in Loop: Header=BB24_7 Depth=2
	v_lshl_add_u64 v[64:65], v[56:57], 1, v[62:63]
	global_load_ushort v64, v[64:65], off
	s_waitcnt vmcnt(0)
	v_cvt_f32_f16_e32 v118, v64
.LBB24_53:                              ;   in Loop: Header=BB24_7 Depth=2
	s_or_b64 exec, exec, s[94:95]
	global_load_ushort v121, v[50:51], off offset:46
	v_mov_b32_e32 v122, 0
	v_mov_b32_e32 v123, 0
	s_and_saveexec_b64 s[94:95], s[86:87]
	s_cbranch_execz .LBB24_55
; %bb.54:                               ;   in Loop: Header=BB24_7 Depth=2
	v_lshl_add_u64 v[64:65], v[42:43], 1, v[62:63]
	global_load_ushort v64, v[64:65], off
	s_waitcnt vmcnt(0)
	v_cvt_f32_f16_e32 v123, v64
.LBB24_55:                              ;   in Loop: Header=BB24_7 Depth=2
	s_or_b64 exec, exec, s[94:95]
	global_load_ushort v124, v[50:51], off offset:48
	s_and_saveexec_b64 s[94:95], s[88:89]
	s_cbranch_execz .LBB24_57
; %bb.56:                               ;   in Loop: Header=BB24_7 Depth=2
	v_lshl_add_u64 v[64:65], v[44:45], 1, v[62:63]
	global_load_ushort v64, v[64:65], off
	s_waitcnt vmcnt(0)
	v_cvt_f32_f16_e32 v122, v64
.LBB24_57:                              ;   in Loop: Header=BB24_7 Depth=2
	s_or_b64 exec, exec, s[94:95]
	global_load_ushort v125, v[50:51], off offset:50
	v_mov_b32_e32 v126, 0
	v_mov_b32_e32 v64, 0
	s_and_saveexec_b64 s[94:95], s[90:91]
	s_cbranch_execz .LBB24_59
; %bb.58:                               ;   in Loop: Header=BB24_7 Depth=2
	v_lshl_add_u64 v[64:65], v[48:49], 1, v[62:63]
	global_load_ushort v64, v[64:65], off
	s_waitcnt vmcnt(0)
	v_cvt_f32_f16_e32 v64, v64
.LBB24_59:                              ;   in Loop: Header=BB24_7 Depth=2
	s_or_b64 exec, exec, s[94:95]
	global_load_ushort v65, v[50:51], off offset:52
	s_and_saveexec_b64 s[94:95], s[2:3]
	s_cbranch_execz .LBB24_6
; %bb.60:                               ;   in Loop: Header=BB24_7 Depth=2
	v_lshl_add_u64 v[62:63], v[58:59], 1, v[62:63]
	global_load_ushort v62, v[62:63], off
	s_waitcnt vmcnt(0)
	v_cvt_f32_f16_e32 v126, v62
	s_branch .LBB24_6
.LBB24_61:                              ;   in Loop: Header=BB24_4 Depth=1
	v_mov_b32_e32 v2, 0
	s_branch .LBB24_3
.LBB24_62:
	s_endpgm
	.section	.rodata,"a",@progbits
	.p2align	6, 0x0
	.amdhsa_kernel _ZN2at6native12_GLOBAL__N_143conv_depthwise3d_cuda_backward_input_kernelIN3c104HalfEfLi3ELi3ELi3ELin1ELin1ELin1ELi1ELi1ELi1EEEvN5torch10headeronly6detail27GenericPackedTensorAccessorINS7_14TensorAccessorINS3_8ArrayRefIlEEKT_Lm4ENS6_16DefaultPtrTraitsEiEENS_6detail16IndexBoundsCheckILm5EiEESD_Lm5ESE_iEENS8_INS9_ISB_SC_Lm4ESE_iEESI_SC_Lm5ESE_iEESJ_iiiiiiiii
		.amdhsa_group_segment_fixed_size 0
		.amdhsa_private_segment_fixed_size 12
		.amdhsa_kernarg_size 440
		.amdhsa_user_sgpr_count 2
		.amdhsa_user_sgpr_dispatch_ptr 0
		.amdhsa_user_sgpr_queue_ptr 0
		.amdhsa_user_sgpr_kernarg_segment_ptr 1
		.amdhsa_user_sgpr_dispatch_id 0
		.amdhsa_user_sgpr_kernarg_preload_length 0
		.amdhsa_user_sgpr_kernarg_preload_offset 0
		.amdhsa_user_sgpr_private_segment_size 0
		.amdhsa_uses_dynamic_stack 0
		.amdhsa_enable_private_segment 1
		.amdhsa_system_sgpr_workgroup_id_x 1
		.amdhsa_system_sgpr_workgroup_id_y 0
		.amdhsa_system_sgpr_workgroup_id_z 0
		.amdhsa_system_sgpr_workgroup_info 0
		.amdhsa_system_vgpr_workitem_id 0
		.amdhsa_next_free_vgpr 128
		.amdhsa_next_free_sgpr 100
		.amdhsa_accum_offset 128
		.amdhsa_reserve_vcc 1
		.amdhsa_float_round_mode_32 0
		.amdhsa_float_round_mode_16_64 0
		.amdhsa_float_denorm_mode_32 3
		.amdhsa_float_denorm_mode_16_64 3
		.amdhsa_dx10_clamp 1
		.amdhsa_ieee_mode 1
		.amdhsa_fp16_overflow 0
		.amdhsa_tg_split 0
		.amdhsa_exception_fp_ieee_invalid_op 0
		.amdhsa_exception_fp_denorm_src 0
		.amdhsa_exception_fp_ieee_div_zero 0
		.amdhsa_exception_fp_ieee_overflow 0
		.amdhsa_exception_fp_ieee_underflow 0
		.amdhsa_exception_fp_ieee_inexact 0
		.amdhsa_exception_int_div_zero 0
	.end_amdhsa_kernel
	.section	.text._ZN2at6native12_GLOBAL__N_143conv_depthwise3d_cuda_backward_input_kernelIN3c104HalfEfLi3ELi3ELi3ELin1ELin1ELin1ELi1ELi1ELi1EEEvN5torch10headeronly6detail27GenericPackedTensorAccessorINS7_14TensorAccessorINS3_8ArrayRefIlEEKT_Lm4ENS6_16DefaultPtrTraitsEiEENS_6detail16IndexBoundsCheckILm5EiEESD_Lm5ESE_iEENS8_INS9_ISB_SC_Lm4ESE_iEESI_SC_Lm5ESE_iEESJ_iiiiiiiii,"axG",@progbits,_ZN2at6native12_GLOBAL__N_143conv_depthwise3d_cuda_backward_input_kernelIN3c104HalfEfLi3ELi3ELi3ELin1ELin1ELin1ELi1ELi1ELi1EEEvN5torch10headeronly6detail27GenericPackedTensorAccessorINS7_14TensorAccessorINS3_8ArrayRefIlEEKT_Lm4ENS6_16DefaultPtrTraitsEiEENS_6detail16IndexBoundsCheckILm5EiEESD_Lm5ESE_iEENS8_INS9_ISB_SC_Lm4ESE_iEESI_SC_Lm5ESE_iEESJ_iiiiiiiii,comdat
.Lfunc_end24:
	.size	_ZN2at6native12_GLOBAL__N_143conv_depthwise3d_cuda_backward_input_kernelIN3c104HalfEfLi3ELi3ELi3ELin1ELin1ELin1ELi1ELi1ELi1EEEvN5torch10headeronly6detail27GenericPackedTensorAccessorINS7_14TensorAccessorINS3_8ArrayRefIlEEKT_Lm4ENS6_16DefaultPtrTraitsEiEENS_6detail16IndexBoundsCheckILm5EiEESD_Lm5ESE_iEENS8_INS9_ISB_SC_Lm4ESE_iEESI_SC_Lm5ESE_iEESJ_iiiiiiiii, .Lfunc_end24-_ZN2at6native12_GLOBAL__N_143conv_depthwise3d_cuda_backward_input_kernelIN3c104HalfEfLi3ELi3ELi3ELin1ELin1ELin1ELi1ELi1ELi1EEEvN5torch10headeronly6detail27GenericPackedTensorAccessorINS7_14TensorAccessorINS3_8ArrayRefIlEEKT_Lm4ENS6_16DefaultPtrTraitsEiEENS_6detail16IndexBoundsCheckILm5EiEESD_Lm5ESE_iEENS8_INS9_ISB_SC_Lm4ESE_iEESI_SC_Lm5ESE_iEESJ_iiiiiiiii
                                        ; -- End function
	.set _ZN2at6native12_GLOBAL__N_143conv_depthwise3d_cuda_backward_input_kernelIN3c104HalfEfLi3ELi3ELi3ELin1ELin1ELin1ELi1ELi1ELi1EEEvN5torch10headeronly6detail27GenericPackedTensorAccessorINS7_14TensorAccessorINS3_8ArrayRefIlEEKT_Lm4ENS6_16DefaultPtrTraitsEiEENS_6detail16IndexBoundsCheckILm5EiEESD_Lm5ESE_iEENS8_INS9_ISB_SC_Lm4ESE_iEESI_SC_Lm5ESE_iEESJ_iiiiiiiii.num_vgpr, 128
	.set _ZN2at6native12_GLOBAL__N_143conv_depthwise3d_cuda_backward_input_kernelIN3c104HalfEfLi3ELi3ELi3ELin1ELin1ELin1ELi1ELi1ELi1EEEvN5torch10headeronly6detail27GenericPackedTensorAccessorINS7_14TensorAccessorINS3_8ArrayRefIlEEKT_Lm4ENS6_16DefaultPtrTraitsEiEENS_6detail16IndexBoundsCheckILm5EiEESD_Lm5ESE_iEENS8_INS9_ISB_SC_Lm4ESE_iEESI_SC_Lm5ESE_iEESJ_iiiiiiiii.num_agpr, 0
	.set _ZN2at6native12_GLOBAL__N_143conv_depthwise3d_cuda_backward_input_kernelIN3c104HalfEfLi3ELi3ELi3ELin1ELin1ELin1ELi1ELi1ELi1EEEvN5torch10headeronly6detail27GenericPackedTensorAccessorINS7_14TensorAccessorINS3_8ArrayRefIlEEKT_Lm4ENS6_16DefaultPtrTraitsEiEENS_6detail16IndexBoundsCheckILm5EiEESD_Lm5ESE_iEENS8_INS9_ISB_SC_Lm4ESE_iEESI_SC_Lm5ESE_iEESJ_iiiiiiiii.numbered_sgpr, 100
	.set _ZN2at6native12_GLOBAL__N_143conv_depthwise3d_cuda_backward_input_kernelIN3c104HalfEfLi3ELi3ELi3ELin1ELin1ELin1ELi1ELi1ELi1EEEvN5torch10headeronly6detail27GenericPackedTensorAccessorINS7_14TensorAccessorINS3_8ArrayRefIlEEKT_Lm4ENS6_16DefaultPtrTraitsEiEENS_6detail16IndexBoundsCheckILm5EiEESD_Lm5ESE_iEENS8_INS9_ISB_SC_Lm4ESE_iEESI_SC_Lm5ESE_iEESJ_iiiiiiiii.num_named_barrier, 0
	.set _ZN2at6native12_GLOBAL__N_143conv_depthwise3d_cuda_backward_input_kernelIN3c104HalfEfLi3ELi3ELi3ELin1ELin1ELin1ELi1ELi1ELi1EEEvN5torch10headeronly6detail27GenericPackedTensorAccessorINS7_14TensorAccessorINS3_8ArrayRefIlEEKT_Lm4ENS6_16DefaultPtrTraitsEiEENS_6detail16IndexBoundsCheckILm5EiEESD_Lm5ESE_iEENS8_INS9_ISB_SC_Lm4ESE_iEESI_SC_Lm5ESE_iEESJ_iiiiiiiii.private_seg_size, 12
	.set _ZN2at6native12_GLOBAL__N_143conv_depthwise3d_cuda_backward_input_kernelIN3c104HalfEfLi3ELi3ELi3ELin1ELin1ELin1ELi1ELi1ELi1EEEvN5torch10headeronly6detail27GenericPackedTensorAccessorINS7_14TensorAccessorINS3_8ArrayRefIlEEKT_Lm4ENS6_16DefaultPtrTraitsEiEENS_6detail16IndexBoundsCheckILm5EiEESD_Lm5ESE_iEENS8_INS9_ISB_SC_Lm4ESE_iEESI_SC_Lm5ESE_iEESJ_iiiiiiiii.uses_vcc, 1
	.set _ZN2at6native12_GLOBAL__N_143conv_depthwise3d_cuda_backward_input_kernelIN3c104HalfEfLi3ELi3ELi3ELin1ELin1ELin1ELi1ELi1ELi1EEEvN5torch10headeronly6detail27GenericPackedTensorAccessorINS7_14TensorAccessorINS3_8ArrayRefIlEEKT_Lm4ENS6_16DefaultPtrTraitsEiEENS_6detail16IndexBoundsCheckILm5EiEESD_Lm5ESE_iEENS8_INS9_ISB_SC_Lm4ESE_iEESI_SC_Lm5ESE_iEESJ_iiiiiiiii.uses_flat_scratch, 0
	.set _ZN2at6native12_GLOBAL__N_143conv_depthwise3d_cuda_backward_input_kernelIN3c104HalfEfLi3ELi3ELi3ELin1ELin1ELin1ELi1ELi1ELi1EEEvN5torch10headeronly6detail27GenericPackedTensorAccessorINS7_14TensorAccessorINS3_8ArrayRefIlEEKT_Lm4ENS6_16DefaultPtrTraitsEiEENS_6detail16IndexBoundsCheckILm5EiEESD_Lm5ESE_iEENS8_INS9_ISB_SC_Lm4ESE_iEESI_SC_Lm5ESE_iEESJ_iiiiiiiii.has_dyn_sized_stack, 0
	.set _ZN2at6native12_GLOBAL__N_143conv_depthwise3d_cuda_backward_input_kernelIN3c104HalfEfLi3ELi3ELi3ELin1ELin1ELin1ELi1ELi1ELi1EEEvN5torch10headeronly6detail27GenericPackedTensorAccessorINS7_14TensorAccessorINS3_8ArrayRefIlEEKT_Lm4ENS6_16DefaultPtrTraitsEiEENS_6detail16IndexBoundsCheckILm5EiEESD_Lm5ESE_iEENS8_INS9_ISB_SC_Lm4ESE_iEESI_SC_Lm5ESE_iEESJ_iiiiiiiii.has_recursion, 0
	.set _ZN2at6native12_GLOBAL__N_143conv_depthwise3d_cuda_backward_input_kernelIN3c104HalfEfLi3ELi3ELi3ELin1ELin1ELin1ELi1ELi1ELi1EEEvN5torch10headeronly6detail27GenericPackedTensorAccessorINS7_14TensorAccessorINS3_8ArrayRefIlEEKT_Lm4ENS6_16DefaultPtrTraitsEiEENS_6detail16IndexBoundsCheckILm5EiEESD_Lm5ESE_iEENS8_INS9_ISB_SC_Lm4ESE_iEESI_SC_Lm5ESE_iEESJ_iiiiiiiii.has_indirect_call, 0
	.section	.AMDGPU.csdata,"",@progbits
; Kernel info:
; codeLenInByte = 3956
; TotalNumSgprs: 106
; NumVgprs: 128
; NumAgprs: 0
; TotalNumVgprs: 128
; ScratchSize: 12
; MemoryBound: 0
; FloatMode: 240
; IeeeMode: 1
; LDSByteSize: 0 bytes/workgroup (compile time only)
; SGPRBlocks: 13
; VGPRBlocks: 15
; NumSGPRsForWavesPerEU: 106
; NumVGPRsForWavesPerEU: 128
; AccumOffset: 128
; Occupancy: 4
; WaveLimiterHint : 0
; COMPUTE_PGM_RSRC2:SCRATCH_EN: 1
; COMPUTE_PGM_RSRC2:USER_SGPR: 2
; COMPUTE_PGM_RSRC2:TRAP_HANDLER: 0
; COMPUTE_PGM_RSRC2:TGID_X_EN: 1
; COMPUTE_PGM_RSRC2:TGID_Y_EN: 0
; COMPUTE_PGM_RSRC2:TGID_Z_EN: 0
; COMPUTE_PGM_RSRC2:TIDIG_COMP_CNT: 0
; COMPUTE_PGM_RSRC3_GFX90A:ACCUM_OFFSET: 31
; COMPUTE_PGM_RSRC3_GFX90A:TG_SPLIT: 0
	.section	.text._ZN2at6native12_GLOBAL__N_143conv_depthwise3d_cuda_backward_input_kernelIN3c104HalfEfLi3ELi3ELi3ELin1ELin1ELin1ELin1ELin1ELin1EEEvN5torch10headeronly6detail27GenericPackedTensorAccessorINS7_14TensorAccessorINS3_8ArrayRefIlEEKT_Lm4ENS6_16DefaultPtrTraitsEiEENS_6detail16IndexBoundsCheckILm5EiEESD_Lm5ESE_iEENS8_INS9_ISB_SC_Lm4ESE_iEESI_SC_Lm5ESE_iEESJ_iiiiiiiii,"axG",@progbits,_ZN2at6native12_GLOBAL__N_143conv_depthwise3d_cuda_backward_input_kernelIN3c104HalfEfLi3ELi3ELi3ELin1ELin1ELin1ELin1ELin1ELin1EEEvN5torch10headeronly6detail27GenericPackedTensorAccessorINS7_14TensorAccessorINS3_8ArrayRefIlEEKT_Lm4ENS6_16DefaultPtrTraitsEiEENS_6detail16IndexBoundsCheckILm5EiEESD_Lm5ESE_iEENS8_INS9_ISB_SC_Lm4ESE_iEESI_SC_Lm5ESE_iEESJ_iiiiiiiii,comdat
	.globl	_ZN2at6native12_GLOBAL__N_143conv_depthwise3d_cuda_backward_input_kernelIN3c104HalfEfLi3ELi3ELi3ELin1ELin1ELin1ELin1ELin1ELin1EEEvN5torch10headeronly6detail27GenericPackedTensorAccessorINS7_14TensorAccessorINS3_8ArrayRefIlEEKT_Lm4ENS6_16DefaultPtrTraitsEiEENS_6detail16IndexBoundsCheckILm5EiEESD_Lm5ESE_iEENS8_INS9_ISB_SC_Lm4ESE_iEESI_SC_Lm5ESE_iEESJ_iiiiiiiii ; -- Begin function _ZN2at6native12_GLOBAL__N_143conv_depthwise3d_cuda_backward_input_kernelIN3c104HalfEfLi3ELi3ELi3ELin1ELin1ELin1ELin1ELin1ELin1EEEvN5torch10headeronly6detail27GenericPackedTensorAccessorINS7_14TensorAccessorINS3_8ArrayRefIlEEKT_Lm4ENS6_16DefaultPtrTraitsEiEENS_6detail16IndexBoundsCheckILm5EiEESD_Lm5ESE_iEENS8_INS9_ISB_SC_Lm4ESE_iEESI_SC_Lm5ESE_iEESJ_iiiiiiiii
	.p2align	8
	.type	_ZN2at6native12_GLOBAL__N_143conv_depthwise3d_cuda_backward_input_kernelIN3c104HalfEfLi3ELi3ELi3ELin1ELin1ELin1ELin1ELin1ELin1EEEvN5torch10headeronly6detail27GenericPackedTensorAccessorINS7_14TensorAccessorINS3_8ArrayRefIlEEKT_Lm4ENS6_16DefaultPtrTraitsEiEENS_6detail16IndexBoundsCheckILm5EiEESD_Lm5ESE_iEENS8_INS9_ISB_SC_Lm4ESE_iEESI_SC_Lm5ESE_iEESJ_iiiiiiiii,@function
_ZN2at6native12_GLOBAL__N_143conv_depthwise3d_cuda_backward_input_kernelIN3c104HalfEfLi3ELi3ELi3ELin1ELin1ELin1ELin1ELin1ELin1EEEvN5torch10headeronly6detail27GenericPackedTensorAccessorINS7_14TensorAccessorINS3_8ArrayRefIlEEKT_Lm4ENS6_16DefaultPtrTraitsEiEENS_6detail16IndexBoundsCheckILm5EiEESD_Lm5ESE_iEENS8_INS9_ISB_SC_Lm4ESE_iEESI_SC_Lm5ESE_iEESJ_iiiiiiiii: ; @_ZN2at6native12_GLOBAL__N_143conv_depthwise3d_cuda_backward_input_kernelIN3c104HalfEfLi3ELi3ELi3ELin1ELin1ELin1ELin1ELin1ELin1EEEvN5torch10headeronly6detail27GenericPackedTensorAccessorINS7_14TensorAccessorINS3_8ArrayRefIlEEKT_Lm4ENS6_16DefaultPtrTraitsEiEENS_6detail16IndexBoundsCheckILm5EiEESD_Lm5ESE_iEENS8_INS9_ISB_SC_Lm4ESE_iEESI_SC_Lm5ESE_iEESJ_iiiiiiiii
; %bb.0:
	s_load_dwordx4 s[8:11], s[0:1], 0x38
	s_load_dwordx2 s[16:17], s[0:1], 0x48
	s_load_dword s4, s[0:1], 0xc4
                                        ; implicit-def: $vgpr126 : SGPR spill to VGPR lane
	v_mov_b32_e32 v3, s2
	v_mov_b32_e32 v1, 0
	s_waitcnt lgkmcnt(0)
	s_abs_i32 s3, s9
	v_cvt_f32_u32_e32 v2, s3
	v_writelane_b32 v126, s3, 0
	s_mov_b64 s[6:7], s[10:11]
	s_mov_b32 s5, s9
	v_rcp_iflag_f32_e32 v2, v2
	v_writelane_b32 v126, s4, 1
	s_mul_i32 s8, s17, s8
	s_add_u32 s2, s0, 0xb8
	v_mul_f32_e32 v2, 0x4f7ffffe, v2
	v_writelane_b32 v126, s5, 2
	v_cvt_u32_f32_e32 v2, v2
	v_writelane_b32 v126, s6, 3
	v_writelane_b32 v126, s7, 4
	s_addc_u32 s3, s1, 0
	s_and_b32 s4, s4, 0xffff
	s_ashr_i32 s9, s8, 31
	v_mad_u64_u32 v[0:1], s[6:7], s4, v3, v[0:1]
	v_writelane_b32 v126, s8, 5
	v_readfirstlane_b32 s5, v2
	s_nop 0
	v_writelane_b32 v126, s9, 6
	v_cmp_gt_i64_e32 vcc, s[8:9], v[0:1]
	s_and_saveexec_b64 s[6:7], vcc
	s_cbranch_execz .LBB25_63
; %bb.1:
	s_load_dwordx2 s[6:7], s[0:1], 0x0
	s_load_dwordx4 s[28:31], s[0:1], 0x50
	s_load_dwordx4 s[8:11], s[0:1], 0xc
	s_load_dwordx4 s[12:15], s[0:1], 0x38
	s_load_dwordx8 s[20:27], s[0:1], 0x90
	s_load_dword s18, s[0:1], 0xb0
                                        ; kill: killed $sgpr2 killed $sgpr3
                                        ; kill: killed $sgpr0 killed $sgpr1
	s_waitcnt lgkmcnt(0)
	v_writelane_b32 v126, s6, 7
	s_ashr_i32 s12, s13, 31
	s_nop 0
	v_writelane_b32 v126, s7, 8
	s_ashr_i32 s6, s8, 31
	v_writelane_b32 v126, s8, 9
	s_abs_i32 s7, s8
	s_xor_b32 s6, s6, s12
	v_writelane_b32 v126, s9, 10
	v_writelane_b32 v126, s10, 11
	;; [unrolled: 1-line block ×3, first 2 shown]
	s_mov_b32 s13, 0
	v_readlane_b32 s11, v126, 0
	s_sub_i32 s8, 0, s11
	s_mul_i32 s9, s8, s5
	s_mul_hi_u32 s9, s5, s9
	s_add_i32 s5, s5, s9
	s_mul_hi_u32 s5, s7, s5
	s_mul_i32 s9, s5, s11
	s_sub_i32 s7, s7, s9
	s_add_i32 s9, s5, 1
	s_sub_i32 s10, s7, s11
	s_cmp_ge_u32 s7, s11
	s_cselect_b32 s5, s9, s5
	s_cselect_b32 s7, s10, s7
	s_add_i32 s9, s5, 1
	s_cmp_ge_u32 s7, s11
	s_cselect_b32 s5, s9, s5
	s_xor_b32 s5, s5, s6
	s_sub_i32 s6, s5, s6
	s_load_dword s5, s[2:3], 0x0
	s_load_dword s7, s[0:1], 0x7c
	s_load_dwordx2 s[10:11], s[0:1], 0x1c
	v_writelane_b32 v126, s12, 13
	s_cmp_gt_i32 s6, 0
	s_cselect_b64 s[2:3], -1, 0
	s_waitcnt lgkmcnt(0)
	v_writelane_b32 v126, s7, 14
	v_writelane_b32 v126, s10, 15
	s_mul_i32 s12, s5, s4
	s_abs_i32 s4, s14
	v_writelane_b32 v126, s11, 16
	s_load_dwordx2 s[10:11], s[0:1], 0x30
	s_abs_i32 s33, s22
	s_waitcnt lgkmcnt(0)
	v_writelane_b32 v126, s10, 17
	s_nop 1
	v_writelane_b32 v126, s11, 18
	s_load_dwordx2 s[10:11], s[0:1], 0x60
	v_writelane_b32 v126, s6, 19
	s_abs_i32 s6, s16
	v_cvt_f32_u32_e32 v3, s6
	s_lshl_b32 s0, s18, 1
	s_waitcnt lgkmcnt(0)
	v_writelane_b32 v126, s10, 20
	s_abs_i32 s1, s15
	v_rcp_iflag_f32_e32 v3, v3
	v_writelane_b32 v126, s11, 21
	v_writelane_b32 v126, s28, 22
	v_cvt_f32_u32_e32 v4, s1
	v_mul_f32_e32 v3, 0x4f7ffffe, v3
	v_writelane_b32 v126, s29, 23
	v_writelane_b32 v126, s30, 24
	;; [unrolled: 1-line block ×4, first 2 shown]
	v_cvt_u32_f32_e32 v3, v3
	v_rcp_iflag_f32_e32 v4, v4
	v_writelane_b32 v126, s13, 27
	v_writelane_b32 v126, s18, 28
	;; [unrolled: 1-line block ×3, first 2 shown]
	s_lshl_b32 s0, s27, 1
	v_writelane_b32 v126, s0, 30
	s_lshl_b32 s0, s26, 1
	v_writelane_b32 v126, s0, 31
	s_ashr_i32 s0, s16, 31
	v_writelane_b32 v126, s0, 32
	s_sub_i32 s0, 0, s6
	v_mul_lo_u32 v5, s0, v3
	v_mul_hi_u32 v5, v3, v5
	v_add_u32_e32 v3, v3, v5
	scratch_store_dword off, v3, off        ; 4-byte Folded Spill
	v_cvt_f32_u32_e32 v3, s4
	v_mul_f32_e32 v4, 0x4f7ffffe, v4
	v_cvt_u32_f32_e32 v4, v4
	v_writelane_b32 v126, s6, 33
	v_rcp_iflag_f32_e32 v3, v3
	s_ashr_i32 s0, s15, 31
	v_writelane_b32 v126, s0, 34
	s_sub_i32 s0, 0, s1
	v_mul_f32_e32 v3, 0x4f7ffffe, v3
	v_cvt_u32_f32_e32 v3, v3
	v_mul_lo_u32 v5, s0, v4
	v_writelane_b32 v126, s1, 35
	v_mul_hi_u32 v5, v4, v5
	s_ashr_i32 s0, s14, 31
	v_add_u32_e32 v4, v4, v5
	v_writelane_b32 v126, s0, 36
	s_sub_i32 s0, 0, s4
	scratch_store_dword off, v4, off offset:4 ; 4-byte Folded Spill
	v_mul_lo_u32 v4, s0, v3
	s_abs_i32 s0, s20
	v_cvt_f32_u32_e32 v5, s0
	v_mul_hi_u32 v4, v3, v4
	v_add_u32_e32 v3, v3, v4
	scratch_store_dword off, v3, off offset:8 ; 4-byte Folded Spill
	v_rcp_iflag_f32_e32 v4, v5
	v_mul_lo_u32 v3, s8, v2
	v_mul_hi_u32 v3, v2, v3
	v_add_u32_e32 v2, v2, v3
	scratch_store_dword off, v2, off offset:12 ; 4-byte Folded Spill
	v_mul_f32_e32 v2, 0x4f7ffffe, v4
	v_cvt_u32_f32_e32 v2, v2
	v_writelane_b32 v126, s4, 37
	s_ashr_i32 s1, s20, 31
	v_writelane_b32 v126, s1, 38
	s_abs_i32 s1, s21
	v_writelane_b32 v126, s0, 39
	s_sub_i32 s0, 0, s0
	v_cvt_f32_u32_e32 v3, s1
	v_mul_lo_u32 v4, s0, v2
	v_mul_hi_u32 v4, v2, v4
	v_add_u32_e32 v2, v2, v4
	scratch_store_dword off, v2, off offset:16 ; 4-byte Folded Spill
	v_cvt_f32_u32_e32 v2, s33
	v_rcp_iflag_f32_e32 v3, v3
	s_ashr_i32 s0, s21, 31
	v_writelane_b32 v126, s0, 40
	v_writelane_b32 v126, s1, 41
	v_rcp_iflag_f32_e32 v2, v2
	v_writelane_b32 v126, s20, 42
	v_mul_f32_e32 v3, 0x4f7ffffe, v3
	v_cvt_u32_f32_e32 v3, v3
	v_writelane_b32 v126, s21, 43
	v_writelane_b32 v126, s22, 44
	;; [unrolled: 1-line block ×3, first 2 shown]
	v_mul_f32_e32 v2, 0x4f7ffffe, v2
	v_writelane_b32 v126, s24, 46
	s_sub_i32 s0, 0, s1
	v_cvt_u32_f32_e32 v2, v2
	v_writelane_b32 v126, s25, 47
	v_mul_lo_u32 v4, s0, v3
	v_writelane_b32 v126, s26, 48
	v_mul_hi_u32 v4, v3, v4
	v_writelane_b32 v126, s27, 49
	s_ashr_i32 s0, s22, 31
	v_add_u32_e32 v3, v3, v4
	v_writelane_b32 v126, s0, 50
	s_sub_i32 s0, 0, s33
	scratch_store_dword off, v3, off offset:20 ; 4-byte Folded Spill
	v_mul_lo_u32 v3, s0, v2
	v_mul_hi_u32 v3, v2, v3
	v_add_u32_e32 v70, v2, v3
	v_cndmask_b32_e64 v2, 0, 1, s[2:3]
	v_cmp_ne_u32_e64 s[0:1], 1, v2
	s_mov_b64 s[4:5], 0
	s_nop 0
	v_writelane_b32 v126, s0, 51
	s_nop 1
	v_writelane_b32 v126, s1, 52
	v_writelane_b32 v126, s16, 53
	s_nop 1
	v_writelane_b32 v126, s17, 54
.LBB25_2:                               ; =>This Loop Header: Depth=1
                                        ;     Child Loop BB25_5 Depth 2
	scratch_load_dword v4, off, off         ; 4-byte Folded Reload
	v_writelane_b32 v126, s4, 55
	v_sub_u32_e32 v3, 0, v0
	v_ashrrev_i32_e32 v2, 31, v0
	v_writelane_b32 v126, s5, 56
	v_max_i32_e32 v3, v0, v3
	v_readlane_b32 s0, v126, 32
	s_waitcnt vmcnt(0)
	v_mul_hi_u32 v4, v3, v4
	v_xor_b32_e32 v2, s0, v2
	v_readlane_b32 s0, v126, 33
	s_nop 1
	v_mul_lo_u32 v5, v4, s0
	v_sub_u32_e32 v3, v3, v5
	v_add_u32_e32 v5, 1, v4
	v_cmp_le_u32_e32 vcc, s0, v3
	s_nop 1
	v_cndmask_b32_e32 v4, v4, v5, vcc
	v_subrev_u32_e32 v5, s0, v3
	v_cndmask_b32_e32 v3, v3, v5, vcc
	v_add_u32_e32 v5, 1, v4
	v_cmp_le_u32_e32 vcc, s0, v3
	v_readlane_b32 s0, v126, 34
	s_nop 0
	v_cndmask_b32_e32 v3, v4, v5, vcc
	scratch_load_dword v5, off, off offset:4 ; 4-byte Folded Reload
	v_xor_b32_e32 v3, v3, v2
	v_sub_u32_e32 v2, v3, v2
	v_mul_lo_u32 v3, v2, s16
	v_sub_u32_e32 v4, 0, v2
	v_sub_u32_e32 v71, v0, v3
	v_ashrrev_i32_e32 v3, 31, v2
	v_max_i32_e32 v4, v2, v4
	v_xor_b32_e32 v3, s0, v3
	v_readlane_b32 s0, v126, 35
	s_waitcnt vmcnt(0)
	v_mul_hi_u32 v5, v4, v5
	v_mul_lo_u32 v6, v5, s0
	v_sub_u32_e32 v4, v4, v6
	v_add_u32_e32 v6, 1, v5
	v_cmp_le_u32_e32 vcc, s0, v4
	s_nop 1
	v_cndmask_b32_e32 v5, v5, v6, vcc
	v_subrev_u32_e32 v6, s0, v4
	v_cndmask_b32_e32 v4, v4, v6, vcc
	v_add_u32_e32 v6, 1, v5
	v_cmp_le_u32_e32 vcc, s0, v4
	v_readlane_b32 s0, v126, 1
	v_readlane_b32 s3, v126, 4
	v_cndmask_b32_e32 v4, v5, v6, vcc
	scratch_load_dword v5, off, off offset:8 ; 4-byte Folded Reload
	v_xor_b32_e32 v4, v4, v3
	v_sub_u32_e32 v3, v4, v3
	v_mul_lo_u32 v4, v3, s3
	v_sub_u32_e32 v72, v2, v4
	v_sub_u32_e32 v4, 0, v3
	v_ashrrev_i32_e32 v2, 31, v3
	v_readlane_b32 s0, v126, 36
	v_max_i32_e32 v4, v3, v4
	v_readlane_b32 s2, v126, 3
	v_xor_b32_e32 v2, s0, v2
	v_readlane_b32 s0, v126, 37
	v_readlane_b32 s1, v126, 2
	s_waitcnt vmcnt(0)
	v_mul_hi_u32 v5, v4, v5
	v_mul_lo_u32 v6, v5, s0
	v_sub_u32_e32 v4, v4, v6
	v_add_u32_e32 v6, 1, v5
	v_cmp_le_u32_e32 vcc, s0, v4
	s_nop 1
	v_cndmask_b32_e32 v5, v5, v6, vcc
	v_subrev_u32_e32 v6, s0, v4
	v_cndmask_b32_e32 v4, v4, v6, vcc
	v_add_u32_e32 v6, 1, v5
	v_cmp_le_u32_e32 vcc, s0, v4
	v_readlane_b32 s0, v126, 13
	s_nop 0
	v_cndmask_b32_e32 v4, v5, v6, vcc
	scratch_load_dword v5, off, off offset:12 ; 4-byte Folded Reload
	v_xor_b32_e32 v4, v4, v2
	v_sub_u32_e32 v2, v4, v2
	v_mul_lo_u32 v4, v2, s2
	v_sub_u32_e32 v73, v3, v4
	v_sub_u32_e32 v4, 0, v2
	v_ashrrev_i32_e32 v3, 31, v2
	v_max_i32_e32 v4, v2, v4
	v_xor_b32_e32 v3, s0, v3
	v_readlane_b32 s0, v126, 0
	s_waitcnt vmcnt(0)
	v_mul_hi_u32 v5, v4, v5
	v_mul_lo_u32 v6, v5, s0
	v_sub_u32_e32 v4, v4, v6
	v_add_u32_e32 v6, 1, v5
	v_cmp_le_u32_e32 vcc, s0, v4
	s_nop 1
	v_cndmask_b32_e32 v5, v5, v6, vcc
	v_subrev_u32_e32 v6, s0, v4
	v_cndmask_b32_e32 v4, v4, v6, vcc
	v_add_u32_e32 v6, 1, v5
	v_cmp_le_u32_e32 vcc, s0, v4
	s_nop 1
	v_cndmask_b32_e32 v4, v5, v6, vcc
	v_xor_b32_e32 v4, v4, v3
	v_sub_u32_e32 v75, v4, v3
	v_mul_lo_u32 v3, v75, s1
	v_readlane_b32 s0, v126, 51
	v_readlane_b32 s1, v126, 52
	s_and_b64 vcc, exec, s[0:1]
	v_sub_u32_e32 v74, v2, v3
	s_cbranch_vccnz .LBB25_60
; %bb.3:                                ;   in Loop: Header=BB25_2 Depth=1
	scratch_load_dword v15, off, off offset:16 ; 4-byte Folded Reload
	scratch_load_dword v12, off, off offset:20 ; 4-byte Folded Reload
	v_readlane_b32 s44, v126, 42
	v_readlane_b32 s47, v126, 45
	;; [unrolled: 1-line block ×4, first 2 shown]
	v_add_u32_e32 v4, s47, v73
	v_sub_u32_e32 v6, 0, v4
	v_max_i32_e32 v6, v4, v6
	v_ashrrev_i32_e32 v3, 31, v4
	v_readlane_b32 s48, v126, 46
	v_xor_b32_e32 v3, s26, v3
	v_readlane_b32 s0, v126, 9
	v_add_u32_e32 v5, s48, v72
	v_readlane_b32 s1, v126, 10
	s_mov_b32 s9, s1
	v_readlane_b32 s2, v126, 11
	v_readlane_b32 s3, v126, 12
	s_mov_b64 s[10:11], s[2:3]
	v_readlane_b32 s49, v126, 47
	v_readlane_b32 s7, v126, 40
	s_mov_b64 s[14:15], s[10:11]
	v_add_u32_e32 v2, s49, v71
	v_readlane_b32 s0, v126, 30
	v_readlane_b32 s51, v126, 49
	v_readlane_b32 s50, v126, 48
	s_mov_b64 s[18:19], s[14:15]
	v_readlane_b32 s45, v126, 43
	v_readlane_b32 s46, v126, 44
	s_mov_b32 s17, s9
	s_mov_b64 s[22:23], s[14:15]
	s_mov_b32 s21, s17
	s_mov_b32 s29, s21
	s_mov_b64 s[30:31], s[22:23]
                                        ; implicit-def: $vgpr127 : SGPR spill to VGPR lane
	s_mov_b32 s53, s29
	v_mov_b32_e32 v78, 0
	s_waitcnt vmcnt(1)
	v_mul_hi_u32 v7, v6, v15
	v_mul_lo_u32 v8, v7, s6
	v_sub_u32_e32 v6, v6, v8
	v_add_u32_e32 v8, 1, v7
	v_cmp_le_u32_e32 vcc, s6, v6
	s_nop 1
	v_cndmask_b32_e32 v7, v7, v8, vcc
	v_subrev_u32_e32 v8, s6, v6
	v_cndmask_b32_e32 v6, v6, v8, vcc
	v_add_u32_e32 v8, 1, v7
	v_cmp_le_u32_e32 vcc, s6, v6
	s_nop 1
	v_cndmask_b32_e32 v6, v7, v8, vcc
	v_xor_b32_e32 v6, v6, v3
	v_sub_u32_e32 v8, v6, v3
	v_sub_u32_e32 v6, 0, v5
	v_max_i32_e32 v6, v5, v6
	v_cmp_gt_i32_e32 vcc, s1, v8
	s_waitcnt vmcnt(0)
	v_mul_hi_u32 v7, v6, v12
	v_readlane_b32 s1, v126, 41
	v_ashrrev_i32_e32 v3, 31, v5
	v_xor_b32_e32 v3, s7, v3
	v_mul_lo_u32 v9, v7, s1
	v_sub_u32_e32 v6, v6, v9
	v_add_u32_e32 v9, 1, v7
	v_cmp_le_u32_e64 s[2:3], s1, v6
	s_nop 1
	v_cndmask_b32_e64 v7, v7, v9, s[2:3]
	v_subrev_u32_e32 v9, s1, v6
	v_cndmask_b32_e64 v6, v6, v9, s[2:3]
	v_add_u32_e32 v9, 1, v7
	v_cmp_le_u32_e64 s[2:3], s1, v6
	s_nop 1
	v_cndmask_b32_e64 v6, v7, v9, s[2:3]
	v_sub_u32_e32 v7, 0, v2
	v_max_i32_e32 v7, v2, v7
	v_mul_hi_u32 v9, v7, v70
	v_mul_lo_u32 v10, v9, s33
	v_sub_u32_e32 v7, v7, v10
	v_add_u32_e32 v10, 1, v9
	v_cmp_le_u32_e64 s[4:5], s33, v7
	v_xor_b32_e32 v6, v6, v3
	v_sub_u32_e32 v3, v6, v3
	v_cndmask_b32_e64 v9, v9, v10, s[4:5]
	v_subrev_u32_e32 v10, s33, v7
	v_cndmask_b32_e64 v7, v7, v10, s[4:5]
	v_cmp_gt_i32_e64 s[2:3], s10, v3
	v_ashrrev_i32_e32 v6, 31, v2
	v_readlane_b32 s10, v126, 50
	v_add_u32_e32 v10, 1, v9
	v_cmp_le_u32_e64 s[4:5], s33, v7
	v_xor_b32_e32 v6, s10, v6
	s_nop 0
	v_cndmask_b32_e64 v7, v9, v10, s[4:5]
	v_xor_b32_e32 v7, v7, v6
	v_sub_u32_e32 v56, v7, v6
	v_subrev_u32_e32 v6, s0, v5
	v_sub_u32_e32 v9, 0, v6
	v_max_i32_e32 v9, v6, v9
	v_mul_hi_u32 v10, v9, v12
	v_mul_lo_u32 v11, v10, s1
	v_sub_u32_e32 v9, v9, v11
	v_add_u32_e32 v11, 1, v10
	v_cmp_le_u32_e64 s[4:5], s1, v9
	v_ashrrev_i32_e32 v7, 31, v6
	v_xor_b32_e32 v7, s7, v7
	v_cndmask_b32_e64 v10, v10, v11, s[4:5]
	v_subrev_u32_e32 v11, s1, v9
	v_cndmask_b32_e64 v9, v9, v11, s[4:5]
	v_add_u32_e32 v11, 1, v10
	v_cmp_le_u32_e64 s[4:5], s1, v9
	v_readlane_b32 s0, v126, 31
	v_or_b32_e32 v16, v56, v3
	v_cndmask_b32_e64 v9, v10, v11, s[4:5]
	v_xor_b32_e32 v9, v9, v7
	v_sub_u32_e32 v57, v9, v7
	v_subrev_u32_e32 v9, s51, v5
	v_sub_u32_e32 v11, 0, v9
	v_max_i32_e32 v11, v9, v11
	v_mul_hi_u32 v12, v11, v12
	v_mul_lo_u32 v13, v12, s1
	v_sub_u32_e32 v11, v11, v13
	v_add_u32_e32 v13, 1, v12
	v_cmp_le_u32_e64 s[4:5], s1, v11
	v_ashrrev_i32_e32 v10, 31, v9
	v_xor_b32_e32 v10, s7, v10
	v_cndmask_b32_e64 v12, v12, v13, s[4:5]
	v_subrev_u32_e32 v13, s1, v11
	v_cndmask_b32_e64 v11, v11, v13, s[4:5]
	v_add_u32_e32 v13, 1, v12
	v_cmp_le_u32_e64 s[4:5], s1, v11
	v_or_b32_e32 v7, v56, v57
	v_or_b32_e32 v31, v7, v8
	v_cndmask_b32_e64 v11, v12, v13, s[4:5]
	v_xor_b32_e32 v11, v11, v10
	v_sub_u32_e32 v50, v11, v10
	v_subrev_u32_e32 v10, s0, v4
	v_sub_u32_e32 v11, 0, v10
	v_max_i32_e32 v11, v10, v11
	v_mul_hi_u32 v12, v11, v15
	v_mul_lo_u32 v14, v12, s6
	v_sub_u32_e32 v11, v11, v14
	v_add_u32_e32 v14, 1, v12
	v_cmp_le_u32_e64 s[4:5], s6, v11
	v_or_b32_e32 v13, v56, v50
	v_or_b32_e32 v28, v13, v8
	v_cndmask_b32_e64 v12, v12, v14, s[4:5]
	v_subrev_u32_e32 v14, s6, v11
	v_cndmask_b32_e64 v11, v11, v14, s[4:5]
	v_add_u32_e32 v14, 1, v12
	v_cmp_le_u32_e64 s[4:5], s6, v11
	s_nop 1
	v_cndmask_b32_e64 v17, v12, v14, s[4:5]
	v_subrev_u32_e32 v12, s50, v4
	v_sub_u32_e32 v14, 0, v12
	v_max_i32_e32 v14, v12, v14
	v_mul_hi_u32 v15, v14, v15
	v_mul_lo_u32 v18, v15, s6
	v_sub_u32_e32 v14, v14, v18
	v_add_u32_e32 v18, 1, v15
	v_cmp_le_u32_e64 s[4:5], s6, v14
	v_ashrrev_i32_e32 v11, 31, v12
	v_xor_b32_e32 v11, s26, v11
	v_cndmask_b32_e64 v15, v15, v18, s[4:5]
	v_subrev_u32_e32 v18, s6, v14
	v_cndmask_b32_e64 v14, v14, v18, s[4:5]
	v_add_u32_e32 v18, 1, v15
	v_cmp_le_u32_e64 s[4:5], s6, v14
	s_nop 1
	v_cndmask_b32_e64 v14, v15, v18, s[4:5]
	v_xor_b32_e32 v14, v14, v11
	v_sub_u32_e32 v26, v14, v11
	v_or_b32_e32 v11, v16, v8
	v_cmp_gt_i32_e64 s[4:5], s19, v56
	v_cmp_lt_i32_e64 s[6:7], -1, v11
	s_and_b64 s[12:13], s[4:5], s[2:3]
	s_and_b64 s[0:1], s[12:13], s[6:7]
	s_and_b64 s[0:1], s[0:1], vcc
	v_writelane_b32 v126, s0, 57
	v_or_b32_e32 v22, v16, v26
	s_nop 0
	v_writelane_b32 v126, s1, 58
	s_nop 0
	v_readlane_b32 s0, v126, 28
	s_nop 1
	v_subrev_u32_e32 v11, s0, v2
	v_sub_u32_e32 v15, 0, v11
	v_max_i32_e32 v15, v11, v15
	v_mul_hi_u32 v18, v15, v70
	v_mul_lo_u32 v19, v18, s33
	v_sub_u32_e32 v15, v15, v19
	v_add_u32_e32 v19, 1, v18
	v_cmp_le_u32_e64 s[6:7], s33, v15
	v_ashrrev_i32_e32 v14, 31, v11
	v_xor_b32_e32 v14, s10, v14
	v_cndmask_b32_e64 v18, v18, v19, s[6:7]
	v_subrev_u32_e32 v19, s33, v15
	v_cndmask_b32_e64 v15, v15, v19, s[6:7]
	v_add_u32_e32 v19, 1, v18
	v_cmp_le_u32_e64 s[6:7], s33, v15
	s_nop 1
	v_cndmask_b32_e64 v15, v18, v19, s[6:7]
	v_xor_b32_e32 v15, v15, v14
	v_sub_u32_e32 v58, v15, v14
	v_or_b32_e32 v20, v58, v3
	v_or_b32_e32 v14, v20, v8
	v_cmp_gt_i32_e64 s[6:7], s19, v58
	v_cmp_lt_i32_e64 s[8:9], -1, v14
	s_and_b64 s[14:15], s[6:7], s[2:3]
	s_and_b64 s[0:1], s[14:15], s[8:9]
	s_and_b64 s[0:1], s[0:1], vcc
	v_writelane_b32 v126, s0, 59
	v_or_b32_e32 v19, v58, v50
	v_or_b32_e32 v29, v19, v8
	v_writelane_b32 v126, s1, 60
	v_or_b32_e32 v15, v58, v57
	v_readlane_b32 s0, v126, 29
	v_or_b32_e32 v32, v15, v8
	v_or_b32_e32 v23, v20, v26
	v_subrev_u32_e32 v14, s0, v2
	v_sub_u32_e32 v21, 0, v14
	v_max_i32_e32 v21, v14, v21
	v_mul_hi_u32 v24, v21, v70
	v_mul_lo_u32 v25, v24, s33
	v_sub_u32_e32 v21, v21, v25
	v_add_u32_e32 v25, 1, v24
	v_cmp_le_u32_e64 s[8:9], s33, v21
	v_ashrrev_i32_e32 v18, 31, v14
	v_xor_b32_e32 v18, s10, v18
	v_cndmask_b32_e64 v24, v24, v25, s[8:9]
	v_subrev_u32_e32 v25, s33, v21
	v_cndmask_b32_e64 v21, v21, v25, s[8:9]
	v_add_u32_e32 v25, 1, v24
	v_cmp_le_u32_e64 s[8:9], s33, v21
	s_nop 1
	v_cndmask_b32_e64 v21, v24, v25, s[8:9]
	v_xor_b32_e32 v21, v21, v18
	v_sub_u32_e32 v60, v21, v18
	v_or_b32_e32 v24, v60, v3
	v_or_b32_e32 v27, v24, v8
	v_cmp_gt_i32_e64 s[10:11], s23, v60
	v_cmp_lt_i32_e64 s[8:9], -1, v27
	s_and_b64 s[16:17], s[10:11], s[2:3]
	s_and_b64 s[0:1], s[16:17], s[8:9]
	s_and_b64 s[0:1], s[0:1], vcc
	v_cmp_gt_i32_e64 s[2:3], s22, v50
	v_writelane_b32 v126, s0, 61
	v_cmp_lt_i32_e64 s[8:9], -1, v28
	s_and_b64 s[20:21], s[4:5], s[2:3]
	v_writelane_b32 v126, s1, 62
	s_and_b64 s[0:1], s[20:21], s[8:9]
	s_and_b64 s[0:1], s[0:1], vcc
	v_writelane_b32 v126, s0, 63
	v_cmp_lt_i32_e64 s[8:9], -1, v29
	s_and_b64 s[22:23], s[6:7], s[2:3]
	v_or_b32_e32 v21, v60, v50
	v_writelane_b32 v127, s1, 0
	s_and_b64 s[0:1], s[22:23], s[8:9]
	s_and_b64 s[0:1], s[0:1], vcc
	v_or_b32_e32 v30, v21, v8
	v_writelane_b32 v127, s0, 1
	v_cmp_lt_i32_e64 s[8:9], -1, v30
	s_and_b64 s[24:25], s[10:11], s[2:3]
	v_writelane_b32 v127, s1, 2
	s_and_b64 s[0:1], s[24:25], s[8:9]
	s_and_b64 s[0:1], s[0:1], vcc
	v_cmp_gt_i32_e64 s[2:3], s30, v57
	v_writelane_b32 v127, s0, 3
	v_cmp_lt_i32_e64 s[8:9], -1, v31
	s_and_b64 s[18:19], s[4:5], s[2:3]
	v_writelane_b32 v127, s1, 4
	s_and_b64 s[0:1], s[18:19], s[8:9]
	v_or_b32_e32 v18, v60, v57
	s_and_b64 s[0:1], s[0:1], vcc
	v_writelane_b32 v127, s0, 5
	v_cmp_lt_i32_e64 s[4:5], -1, v32
	s_and_b64 s[8:9], s[6:7], s[2:3]
	v_or_b32_e32 v33, v18, v8
	v_writelane_b32 v127, s1, 6
	s_and_b64 s[0:1], s[8:9], s[4:5]
	v_cmp_lt_i32_e64 s[4:5], -1, v33
	s_and_b64 s[10:11], s[10:11], s[2:3]
	s_and_b64 s[2:3], s[10:11], s[4:5]
	s_and_b64 s[88:89], s[0:1], vcc
	s_and_b64 s[0:1], s[2:3], vcc
	v_cmp_lt_i32_e64 s[2:3], -1, v22
	v_cmp_gt_i32_e32 vcc, s29, v26
	s_and_b64 s[2:3], s[12:13], s[2:3]
	s_and_b64 s[58:59], s[2:3], vcc
	v_cmp_lt_i32_e64 s[2:3], -1, v23
	v_or_b32_e32 v25, v24, v26
	s_and_b64 s[2:3], s[14:15], s[2:3]
	s_and_b64 s[68:69], s[2:3], vcc
	v_cmp_lt_i32_e64 s[2:3], -1, v25
	v_or_b32_e32 v27, v13, v26
	;; [unrolled: 4-line block ×6, first 2 shown]
	s_and_b64 s[2:3], s[18:19], s[2:3]
	v_ashrrev_i32_e32 v22, 31, v10
	s_and_b64 s[60:61], s[2:3], vcc
	v_cmp_lt_i32_e64 s[2:3], -1, v31
	v_xor_b32_e32 v22, s26, v22
	v_or_b32_e32 v32, v18, v26
	s_and_b64 s[2:3], s[8:9], s[2:3]
	v_xor_b32_e32 v17, v17, v22
	s_and_b64 s[62:63], s[2:3], vcc
	v_cmp_lt_i32_e64 s[2:3], -1, v32
	v_sub_u32_e32 v44, v17, v22
	s_and_b64 s[2:3], s[10:11], s[2:3]
	v_or_b32_e32 v16, v16, v44
	s_and_b64 s[64:65], s[2:3], vcc
	v_cmp_lt_i32_e32 vcc, -1, v16
	v_or_b32_e32 v16, v20, v44
	s_and_b64 s[12:13], s[12:13], vcc
	v_cmp_lt_i32_e32 vcc, -1, v16
	;; [unrolled: 3-line block ×6, first 2 shown]
	v_mul_lo_u32 v13, v8, s44
	v_mul_lo_u32 v16, v3, s45
	;; [unrolled: 1-line block ×4, first 2 shown]
	s_and_b64 s[24:25], s[24:25], vcc
	v_cmp_eq_u32_e32 vcc, v13, v4
	v_cmp_eq_u32_e64 s[2:3], v16, v5
	v_cmp_eq_u32_e64 s[4:5], v17, v9
	;; [unrolled: 1-line block ×3, first 2 shown]
	v_mul_lo_u32 v4, v26, s44
	s_and_b64 s[26:27], vcc, s[2:3]
	s_and_b64 s[28:29], vcc, s[4:5]
	;; [unrolled: 1-line block ×3, first 2 shown]
	v_cmp_eq_u32_e32 vcc, v4, v12
	v_mul_lo_u32 v4, v44, s44
	s_and_b64 s[34:35], vcc, s[2:3]
	s_and_b64 s[36:37], vcc, s[4:5]
	;; [unrolled: 1-line block ×3, first 2 shown]
	v_cmp_eq_u32_e32 vcc, v4, v10
	v_or_b32_e32 v4, v7, v44
	s_and_b64 s[42:43], vcc, s[2:3]
	s_and_b64 s[48:49], vcc, s[4:5]
	;; [unrolled: 1-line block ×3, first 2 shown]
	v_cmp_lt_i32_e32 vcc, -1, v4
	v_or_b32_e32 v4, v15, v44
	s_and_b64 s[2:3], s[18:19], vcc
	v_cmp_lt_i32_e32 vcc, -1, v4
	v_or_b32_e32 v4, v18, v44
	s_and_b64 s[4:5], s[8:9], vcc
	v_cmp_lt_i32_e32 vcc, -1, v4
	v_mul_lo_u32 v4, v56, s46
	v_mul_lo_u32 v5, v58, s46
	;; [unrolled: 1-line block ×3, first 2 shown]
	s_and_b64 s[6:7], s[10:11], vcc
	v_cmp_gt_i32_e32 vcc, s53, v44
	v_cmp_eq_u32_e64 s[50:51], v4, v2
	v_cmp_eq_u32_e64 s[52:53], v5, v11
	v_cmp_eq_u32_e64 s[54:55], v6, v14
	v_readlane_b32 s82, v126, 15
	s_and_b64 s[66:67], s[12:13], vcc
	s_and_b64 s[72:73], s[14:15], vcc
	s_and_b64 s[74:75], s[16:17], vcc
	s_and_b64 s[86:87], s[20:21], vcc
	s_and_b64 s[94:95], s[22:23], vcc
	s_and_b64 s[96:97], s[24:25], vcc
	s_and_b64 s[98:99], s[2:3], vcc
	s_and_b64 s[84:85], s[4:5], vcc
	s_and_b64 s[90:91], s[6:7], vcc
	s_and_b64 vcc, s[26:27], s[50:51]
	s_and_b64 s[2:3], s[26:27], s[52:53]
	s_and_b64 s[4:5], s[26:27], s[54:55]
	;; [unrolled: 1-line block ×26, first 2 shown]
	v_readlane_b32 s57, v126, 19
	v_readlane_b32 s83, v126, 16
	s_mul_i32 s56, s83, s57
	v_mul_lo_u32 v6, s82, v75
	v_readlane_b32 s80, v126, 9
	v_readlane_b32 s82, v126, 11
	;; [unrolled: 1-line block ×3, first 2 shown]
	v_mul_lo_u32 v2, s56, v74
	v_mul_lo_u32 v20, v8, s82
	v_mul_lo_u32 v38, v26, s82
	v_mul_lo_u32 v59, v44, s82
	v_add_u32_e32 v8, v3, v20
	v_add_u32_e32 v26, v3, v38
	;; [unrolled: 1-line block ×3, first 2 shown]
	v_mul_lo_u32 v3, v3, s83
	v_mul_lo_u32 v76, v74, s57
	v_readlane_b32 s56, v126, 14
	v_add_u32_e32 v44, v56, v3
	v_add_u32_e32 v46, v58, v3
	;; [unrolled: 1-line block ×5, first 2 shown]
	v_mul_lo_u32 v4, s56, v76
	v_readlane_b32 s56, v126, 20
	v_mul_lo_u32 v3, v3, s83
	v_ashrrev_i32_e32 v5, 31, v4
	v_readlane_b32 s57, v126, 21
	v_add_u32_e32 v14, v50, v20
	v_add_u32_e32 v20, v57, v20
	;; [unrolled: 1-line block ×8, first 2 shown]
	v_lshl_add_u64 v[4:5], v[4:5], 1, s[56:57]
	v_readlane_b32 s56, v126, 7
	v_mul_lo_u32 v12, v8, s83
	v_mul_lo_u32 v18, v14, s83
	;; [unrolled: 1-line block ×7, first 2 shown]
	v_ashrrev_i32_e32 v7, 31, v6
	v_readlane_b32 s57, v126, 8
	v_readlane_b32 s81, v126, 10
	v_add_u32_e32 v8, v56, v12
	v_add_u32_e32 v10, v58, v12
	;; [unrolled: 1-line block ×21, first 2 shown]
	v_lshl_add_u64 v[6:7], v[6:7], 1, s[56:57]
	v_ashrrev_i32_e32 v9, 31, v8
	v_ashrrev_i32_e32 v11, 31, v10
	v_ashrrev_i32_e32 v13, 31, v12
	v_ashrrev_i32_e32 v15, 31, v14
	v_ashrrev_i32_e32 v17, 31, v16
	v_ashrrev_i32_e32 v19, 31, v18
	v_ashrrev_i32_e32 v21, 31, v20
	v_ashrrev_i32_e32 v23, 31, v22
	v_ashrrev_i32_e32 v25, 31, v24
	v_ashrrev_i32_e32 v27, 31, v26
	v_ashrrev_i32_e32 v29, 31, v28
	v_ashrrev_i32_e32 v31, 31, v30
	v_ashrrev_i32_e32 v33, 31, v32
	v_ashrrev_i32_e32 v35, 31, v34
	v_ashrrev_i32_e32 v37, 31, v36
	v_ashrrev_i32_e32 v39, 31, v38
	v_ashrrev_i32_e32 v41, 31, v40
	v_ashrrev_i32_e32 v43, 31, v42
	s_mov_b64 s[80:81], s[88:89]
	v_ashrrev_i32_e32 v45, 31, v44
	v_ashrrev_i32_e32 v47, 31, v46
	;; [unrolled: 1-line block ×9, first 2 shown]
	s_mov_b64 s[88:89], 0
	s_branch .LBB25_5
.LBB25_4:                               ;   in Loop: Header=BB25_5 Depth=2
	s_or_b64 exec, exec, s[56:57]
	s_waitcnt vmcnt(26)
	v_fma_mix_f32 v3, v3, v79, v78 op_sel_hi:[0,1,0]
	v_cndmask_b32_e32 v3, v78, v3, vcc
	s_waitcnt vmcnt(25)
	v_fma_mix_f32 v62, v82, v80, v3 op_sel_hi:[0,1,0]
	v_cndmask_b32_e64 v3, v3, v62, s[2:3]
	s_waitcnt vmcnt(24)
	v_fma_mix_f32 v62, v81, v83, v3 op_sel_hi:[0,1,0]
	v_cndmask_b32_e64 v3, v3, v62, s[4:5]
	;; [unrolled: 3-line block ×24, first 2 shown]
	v_add_u32_e32 v76, 1, v76
	s_waitcnt vmcnt(1)
	v_fma_mix_f32 v62, v68, v66, v3 op_sel_hi:[0,1,0]
	v_cmp_ge_i32_e64 s[56:57], v76, v77
	v_cndmask_b32_e64 v3, v3, v62, s[52:53]
	s_or_b64 s[88:89], s[56:57], s[88:89]
	v_readlane_b32 s56, v126, 15
	s_waitcnt vmcnt(0)
	v_fma_mix_f32 v62, v67, v69, v3 op_sel_hi:[0,1,0]
	v_readlane_b32 s57, v126, 16
	v_cndmask_b32_e64 v78, v3, v62, s[54:55]
	v_lshl_add_u64 v[4:5], v[4:5], 0, 54
	v_add_u32_e32 v2, s57, v2
	s_andn2_b64 exec, exec, s[88:89]
	s_cbranch_execz .LBB25_59
.LBB25_5:                               ;   Parent Loop BB25_2 Depth=1
                                        ; =>  This Inner Loop Header: Depth=2
	global_load_ushort v79, v[4:5], off
	v_ashrrev_i32_e32 v3, 31, v2
	v_lshl_add_u64 v[62:63], v[2:3], 1, v[6:7]
	v_mov_b32_e32 v3, 0
	s_mov_b64 s[56:57], exec
	v_readlane_b32 s82, v126, 57
	v_readlane_b32 s83, v126, 58
	s_and_b64 s[82:83], s[56:57], s[82:83]
	s_mov_b64 exec, s[82:83]
	s_cbranch_execz .LBB25_7
; %bb.6:                                ;   in Loop: Header=BB25_5 Depth=2
	v_lshl_add_u64 v[64:65], v[8:9], 1, v[62:63]
	global_load_ushort v3, v[64:65], off
	s_waitcnt vmcnt(0)
	v_cvt_f32_f16_e32 v3, v3
.LBB25_7:                               ;   in Loop: Header=BB25_5 Depth=2
	s_or_b64 exec, exec, s[56:57]
	global_load_ushort v80, v[4:5], off offset:2
	v_mov_b32_e32 v81, 0
	v_mov_b32_e32 v82, 0
	s_mov_b64 s[56:57], exec
	v_readlane_b32 s82, v126, 59
	v_readlane_b32 s83, v126, 60
	s_and_b64 s[82:83], s[56:57], s[82:83]
	s_mov_b64 exec, s[82:83]
	s_cbranch_execz .LBB25_9
; %bb.8:                                ;   in Loop: Header=BB25_5 Depth=2
	v_lshl_add_u64 v[64:65], v[10:11], 1, v[62:63]
	global_load_ushort v64, v[64:65], off
	s_waitcnt vmcnt(0)
	v_cvt_f32_f16_e32 v82, v64
.LBB25_9:                               ;   in Loop: Header=BB25_5 Depth=2
	s_or_b64 exec, exec, s[56:57]
	global_load_ushort v83, v[4:5], off offset:4
	s_mov_b64 s[56:57], exec
	v_readlane_b32 s82, v126, 61
	v_readlane_b32 s83, v126, 62
	s_and_b64 s[82:83], s[56:57], s[82:83]
	s_mov_b64 exec, s[82:83]
	s_cbranch_execz .LBB25_11
; %bb.10:                               ;   in Loop: Header=BB25_5 Depth=2
	v_lshl_add_u64 v[64:65], v[12:13], 1, v[62:63]
	global_load_ushort v64, v[64:65], off
	s_waitcnt vmcnt(0)
	v_cvt_f32_f16_e32 v81, v64
.LBB25_11:                              ;   in Loop: Header=BB25_5 Depth=2
	s_or_b64 exec, exec, s[56:57]
	global_load_ushort v84, v[4:5], off offset:6
	v_mov_b32_e32 v85, 0
	v_mov_b32_e32 v86, 0
	s_mov_b64 s[56:57], exec
	v_readlane_b32 s82, v126, 63
	v_readlane_b32 s83, v127, 0
	s_and_b64 s[82:83], s[56:57], s[82:83]
	s_mov_b64 exec, s[82:83]
	s_cbranch_execz .LBB25_13
; %bb.12:                               ;   in Loop: Header=BB25_5 Depth=2
	v_lshl_add_u64 v[64:65], v[14:15], 1, v[62:63]
	global_load_ushort v64, v[64:65], off
	s_waitcnt vmcnt(0)
	v_cvt_f32_f16_e32 v86, v64
.LBB25_13:                              ;   in Loop: Header=BB25_5 Depth=2
	s_or_b64 exec, exec, s[56:57]
	global_load_ushort v87, v[4:5], off offset:8
	s_mov_b64 s[56:57], exec
	v_readlane_b32 s82, v127, 1
	v_readlane_b32 s83, v127, 2
	s_and_b64 s[82:83], s[56:57], s[82:83]
	s_mov_b64 exec, s[82:83]
	s_cbranch_execz .LBB25_15
; %bb.14:                               ;   in Loop: Header=BB25_5 Depth=2
	v_lshl_add_u64 v[64:65], v[16:17], 1, v[62:63]
	global_load_ushort v64, v[64:65], off
	s_waitcnt vmcnt(0)
	v_cvt_f32_f16_e32 v85, v64
.LBB25_15:                              ;   in Loop: Header=BB25_5 Depth=2
	s_or_b64 exec, exec, s[56:57]
	global_load_ushort v88, v[4:5], off offset:10
	v_mov_b32_e32 v89, 0
	v_mov_b32_e32 v90, 0
	s_mov_b64 s[56:57], exec
	v_readlane_b32 s82, v127, 3
	v_readlane_b32 s83, v127, 4
	s_and_b64 s[82:83], s[56:57], s[82:83]
	s_mov_b64 exec, s[82:83]
	s_cbranch_execz .LBB25_17
; %bb.16:                               ;   in Loop: Header=BB25_5 Depth=2
	v_lshl_add_u64 v[64:65], v[18:19], 1, v[62:63]
	global_load_ushort v64, v[64:65], off
	s_waitcnt vmcnt(0)
	v_cvt_f32_f16_e32 v90, v64
.LBB25_17:                              ;   in Loop: Header=BB25_5 Depth=2
	s_or_b64 exec, exec, s[56:57]
	global_load_ushort v91, v[4:5], off offset:12
	s_mov_b64 s[56:57], exec
	v_readlane_b32 s82, v127, 5
	v_readlane_b32 s83, v127, 6
	s_and_b64 s[82:83], s[56:57], s[82:83]
	s_mov_b64 exec, s[82:83]
	s_cbranch_execz .LBB25_19
; %bb.18:                               ;   in Loop: Header=BB25_5 Depth=2
	v_lshl_add_u64 v[64:65], v[20:21], 1, v[62:63]
	global_load_ushort v64, v[64:65], off
	s_waitcnt vmcnt(0)
	v_cvt_f32_f16_e32 v89, v64
.LBB25_19:                              ;   in Loop: Header=BB25_5 Depth=2
	s_or_b64 exec, exec, s[56:57]
	global_load_ushort v92, v[4:5], off offset:14
	v_mov_b32_e32 v93, 0
	v_mov_b32_e32 v94, 0
	s_and_saveexec_b64 s[56:57], s[80:81]
	s_cbranch_execz .LBB25_21
; %bb.20:                               ;   in Loop: Header=BB25_5 Depth=2
	v_lshl_add_u64 v[64:65], v[22:23], 1, v[62:63]
	global_load_ushort v64, v[64:65], off
	s_waitcnt vmcnt(0)
	v_cvt_f32_f16_e32 v94, v64
.LBB25_21:                              ;   in Loop: Header=BB25_5 Depth=2
	s_or_b64 exec, exec, s[56:57]
	global_load_ushort v95, v[4:5], off offset:16
	s_and_saveexec_b64 s[56:57], s[0:1]
	s_cbranch_execz .LBB25_23
; %bb.22:                               ;   in Loop: Header=BB25_5 Depth=2
	v_lshl_add_u64 v[64:65], v[24:25], 1, v[62:63]
	global_load_ushort v64, v[64:65], off
	s_waitcnt vmcnt(0)
	v_cvt_f32_f16_e32 v93, v64
.LBB25_23:                              ;   in Loop: Header=BB25_5 Depth=2
	s_or_b64 exec, exec, s[56:57]
	global_load_ushort v96, v[4:5], off offset:18
	v_mov_b32_e32 v97, 0
	v_mov_b32_e32 v98, 0
	s_and_saveexec_b64 s[56:57], s[58:59]
	s_cbranch_execz .LBB25_25
; %bb.24:                               ;   in Loop: Header=BB25_5 Depth=2
	v_lshl_add_u64 v[64:65], v[26:27], 1, v[62:63]
	global_load_ushort v64, v[64:65], off
	s_waitcnt vmcnt(0)
	v_cvt_f32_f16_e32 v98, v64
.LBB25_25:                              ;   in Loop: Header=BB25_5 Depth=2
	s_or_b64 exec, exec, s[56:57]
	global_load_ushort v99, v[4:5], off offset:20
	s_and_saveexec_b64 s[56:57], s[68:69]
	;; [unrolled: 22-line block ×10, first 2 shown]
	s_cbranch_execz .LBB25_4
; %bb.58:                               ;   in Loop: Header=BB25_5 Depth=2
	v_lshl_add_u64 v[62:63], v[60:61], 1, v[62:63]
	global_load_ushort v62, v[62:63], off
	s_waitcnt vmcnt(0)
	v_cvt_f32_f16_e32 v67, v62
	s_branch .LBB25_4
.LBB25_59:                              ;   in Loop: Header=BB25_2 Depth=1
	s_or_b64 exec, exec, s[88:89]
	v_cvt_f16_f32_e32 v2, v78
	v_readlane_b32 s16, v126, 53
	v_readlane_b32 s17, v126, 54
	s_branch .LBB25_61
.LBB25_60:                              ;   in Loop: Header=BB25_2 Depth=1
	v_mov_b32_e32 v2, 0
.LBB25_61:                              ;   in Loop: Header=BB25_2 Depth=1
	v_readlane_b32 s4, v126, 55
	v_readlane_b32 s5, v126, 56
; %bb.62:                               ;   in Loop: Header=BB25_2 Depth=1
	v_mul_lo_u32 v4, v75, s17
	v_readlane_b32 s0, v126, 17
	v_ashrrev_i32_e32 v5, 31, v4
	v_readlane_b32 s1, v126, 18
	s_nop 1
	v_lshl_add_u64 v[4:5], v[4:5], 1, s[0:1]
	v_readlane_b32 s0, v126, 22
	v_readlane_b32 s1, v126, 23
	v_readlane_b32 s2, v126, 24
	v_mul_lo_u32 v6, s0, v74
	v_ashrrev_i32_e32 v7, 31, v6
	v_lshl_add_u64 v[4:5], v[6:7], 1, v[4:5]
	v_mul_lo_u32 v6, s1, v73
	v_ashrrev_i32_e32 v7, 31, v6
	v_readlane_b32 s0, v126, 26
	v_lshl_add_u64 v[4:5], v[6:7], 1, v[4:5]
	v_mul_lo_u32 v6, s2, v72
	v_readlane_b32 s1, v126, 27
	v_readlane_b32 s3, v126, 25
	v_ashrrev_i32_e32 v7, 31, v6
	v_lshl_add_u64 v[0:1], v[0:1], 0, s[0:1]
	v_readlane_b32 s0, v126, 5
	v_lshl_add_u64 v[4:5], v[6:7], 1, v[4:5]
	v_mul_lo_u32 v6, s3, v71
	v_readlane_b32 s1, v126, 6
	v_ashrrev_i32_e32 v7, 31, v6
	v_lshl_add_u64 v[4:5], v[6:7], 1, v[4:5]
	v_cmp_le_i64_e32 vcc, s[0:1], v[0:1]
	s_or_b64 s[4:5], vcc, s[4:5]
	global_store_short v[4:5], v2, off
	s_andn2_b64 exec, exec, s[4:5]
	s_cbranch_execnz .LBB25_2
.LBB25_63:
	s_endpgm
	.section	.rodata,"a",@progbits
	.p2align	6, 0x0
	.amdhsa_kernel _ZN2at6native12_GLOBAL__N_143conv_depthwise3d_cuda_backward_input_kernelIN3c104HalfEfLi3ELi3ELi3ELin1ELin1ELin1ELin1ELin1ELin1EEEvN5torch10headeronly6detail27GenericPackedTensorAccessorINS7_14TensorAccessorINS3_8ArrayRefIlEEKT_Lm4ENS6_16DefaultPtrTraitsEiEENS_6detail16IndexBoundsCheckILm5EiEESD_Lm5ESE_iEENS8_INS9_ISB_SC_Lm4ESE_iEESI_SC_Lm5ESE_iEESJ_iiiiiiiii
		.amdhsa_group_segment_fixed_size 0
		.amdhsa_private_segment_fixed_size 28
		.amdhsa_kernarg_size 440
		.amdhsa_user_sgpr_count 2
		.amdhsa_user_sgpr_dispatch_ptr 0
		.amdhsa_user_sgpr_queue_ptr 0
		.amdhsa_user_sgpr_kernarg_segment_ptr 1
		.amdhsa_user_sgpr_dispatch_id 0
		.amdhsa_user_sgpr_kernarg_preload_length 0
		.amdhsa_user_sgpr_kernarg_preload_offset 0
		.amdhsa_user_sgpr_private_segment_size 0
		.amdhsa_uses_dynamic_stack 0
		.amdhsa_enable_private_segment 1
		.amdhsa_system_sgpr_workgroup_id_x 1
		.amdhsa_system_sgpr_workgroup_id_y 0
		.amdhsa_system_sgpr_workgroup_id_z 0
		.amdhsa_system_sgpr_workgroup_info 0
		.amdhsa_system_vgpr_workitem_id 0
		.amdhsa_next_free_vgpr 128
		.amdhsa_next_free_sgpr 100
		.amdhsa_accum_offset 128
		.amdhsa_reserve_vcc 1
		.amdhsa_float_round_mode_32 0
		.amdhsa_float_round_mode_16_64 0
		.amdhsa_float_denorm_mode_32 3
		.amdhsa_float_denorm_mode_16_64 3
		.amdhsa_dx10_clamp 1
		.amdhsa_ieee_mode 1
		.amdhsa_fp16_overflow 0
		.amdhsa_tg_split 0
		.amdhsa_exception_fp_ieee_invalid_op 0
		.amdhsa_exception_fp_denorm_src 0
		.amdhsa_exception_fp_ieee_div_zero 0
		.amdhsa_exception_fp_ieee_overflow 0
		.amdhsa_exception_fp_ieee_underflow 0
		.amdhsa_exception_fp_ieee_inexact 0
		.amdhsa_exception_int_div_zero 0
	.end_amdhsa_kernel
	.section	.text._ZN2at6native12_GLOBAL__N_143conv_depthwise3d_cuda_backward_input_kernelIN3c104HalfEfLi3ELi3ELi3ELin1ELin1ELin1ELin1ELin1ELin1EEEvN5torch10headeronly6detail27GenericPackedTensorAccessorINS7_14TensorAccessorINS3_8ArrayRefIlEEKT_Lm4ENS6_16DefaultPtrTraitsEiEENS_6detail16IndexBoundsCheckILm5EiEESD_Lm5ESE_iEENS8_INS9_ISB_SC_Lm4ESE_iEESI_SC_Lm5ESE_iEESJ_iiiiiiiii,"axG",@progbits,_ZN2at6native12_GLOBAL__N_143conv_depthwise3d_cuda_backward_input_kernelIN3c104HalfEfLi3ELi3ELi3ELin1ELin1ELin1ELin1ELin1ELin1EEEvN5torch10headeronly6detail27GenericPackedTensorAccessorINS7_14TensorAccessorINS3_8ArrayRefIlEEKT_Lm4ENS6_16DefaultPtrTraitsEiEENS_6detail16IndexBoundsCheckILm5EiEESD_Lm5ESE_iEENS8_INS9_ISB_SC_Lm4ESE_iEESI_SC_Lm5ESE_iEESJ_iiiiiiiii,comdat
.Lfunc_end25:
	.size	_ZN2at6native12_GLOBAL__N_143conv_depthwise3d_cuda_backward_input_kernelIN3c104HalfEfLi3ELi3ELi3ELin1ELin1ELin1ELin1ELin1ELin1EEEvN5torch10headeronly6detail27GenericPackedTensorAccessorINS7_14TensorAccessorINS3_8ArrayRefIlEEKT_Lm4ENS6_16DefaultPtrTraitsEiEENS_6detail16IndexBoundsCheckILm5EiEESD_Lm5ESE_iEENS8_INS9_ISB_SC_Lm4ESE_iEESI_SC_Lm5ESE_iEESJ_iiiiiiiii, .Lfunc_end25-_ZN2at6native12_GLOBAL__N_143conv_depthwise3d_cuda_backward_input_kernelIN3c104HalfEfLi3ELi3ELi3ELin1ELin1ELin1ELin1ELin1ELin1EEEvN5torch10headeronly6detail27GenericPackedTensorAccessorINS7_14TensorAccessorINS3_8ArrayRefIlEEKT_Lm4ENS6_16DefaultPtrTraitsEiEENS_6detail16IndexBoundsCheckILm5EiEESD_Lm5ESE_iEENS8_INS9_ISB_SC_Lm4ESE_iEESI_SC_Lm5ESE_iEESJ_iiiiiiiii
                                        ; -- End function
	.set _ZN2at6native12_GLOBAL__N_143conv_depthwise3d_cuda_backward_input_kernelIN3c104HalfEfLi3ELi3ELi3ELin1ELin1ELin1ELin1ELin1ELin1EEEvN5torch10headeronly6detail27GenericPackedTensorAccessorINS7_14TensorAccessorINS3_8ArrayRefIlEEKT_Lm4ENS6_16DefaultPtrTraitsEiEENS_6detail16IndexBoundsCheckILm5EiEESD_Lm5ESE_iEENS8_INS9_ISB_SC_Lm4ESE_iEESI_SC_Lm5ESE_iEESJ_iiiiiiiii.num_vgpr, 128
	.set _ZN2at6native12_GLOBAL__N_143conv_depthwise3d_cuda_backward_input_kernelIN3c104HalfEfLi3ELi3ELi3ELin1ELin1ELin1ELin1ELin1ELin1EEEvN5torch10headeronly6detail27GenericPackedTensorAccessorINS7_14TensorAccessorINS3_8ArrayRefIlEEKT_Lm4ENS6_16DefaultPtrTraitsEiEENS_6detail16IndexBoundsCheckILm5EiEESD_Lm5ESE_iEENS8_INS9_ISB_SC_Lm4ESE_iEESI_SC_Lm5ESE_iEESJ_iiiiiiiii.num_agpr, 0
	.set _ZN2at6native12_GLOBAL__N_143conv_depthwise3d_cuda_backward_input_kernelIN3c104HalfEfLi3ELi3ELi3ELin1ELin1ELin1ELin1ELin1ELin1EEEvN5torch10headeronly6detail27GenericPackedTensorAccessorINS7_14TensorAccessorINS3_8ArrayRefIlEEKT_Lm4ENS6_16DefaultPtrTraitsEiEENS_6detail16IndexBoundsCheckILm5EiEESD_Lm5ESE_iEENS8_INS9_ISB_SC_Lm4ESE_iEESI_SC_Lm5ESE_iEESJ_iiiiiiiii.numbered_sgpr, 100
	.set _ZN2at6native12_GLOBAL__N_143conv_depthwise3d_cuda_backward_input_kernelIN3c104HalfEfLi3ELi3ELi3ELin1ELin1ELin1ELin1ELin1ELin1EEEvN5torch10headeronly6detail27GenericPackedTensorAccessorINS7_14TensorAccessorINS3_8ArrayRefIlEEKT_Lm4ENS6_16DefaultPtrTraitsEiEENS_6detail16IndexBoundsCheckILm5EiEESD_Lm5ESE_iEENS8_INS9_ISB_SC_Lm4ESE_iEESI_SC_Lm5ESE_iEESJ_iiiiiiiii.num_named_barrier, 0
	.set _ZN2at6native12_GLOBAL__N_143conv_depthwise3d_cuda_backward_input_kernelIN3c104HalfEfLi3ELi3ELi3ELin1ELin1ELin1ELin1ELin1ELin1EEEvN5torch10headeronly6detail27GenericPackedTensorAccessorINS7_14TensorAccessorINS3_8ArrayRefIlEEKT_Lm4ENS6_16DefaultPtrTraitsEiEENS_6detail16IndexBoundsCheckILm5EiEESD_Lm5ESE_iEENS8_INS9_ISB_SC_Lm4ESE_iEESI_SC_Lm5ESE_iEESJ_iiiiiiiii.private_seg_size, 28
	.set _ZN2at6native12_GLOBAL__N_143conv_depthwise3d_cuda_backward_input_kernelIN3c104HalfEfLi3ELi3ELi3ELin1ELin1ELin1ELin1ELin1ELin1EEEvN5torch10headeronly6detail27GenericPackedTensorAccessorINS7_14TensorAccessorINS3_8ArrayRefIlEEKT_Lm4ENS6_16DefaultPtrTraitsEiEENS_6detail16IndexBoundsCheckILm5EiEESD_Lm5ESE_iEENS8_INS9_ISB_SC_Lm4ESE_iEESI_SC_Lm5ESE_iEESJ_iiiiiiiii.uses_vcc, 1
	.set _ZN2at6native12_GLOBAL__N_143conv_depthwise3d_cuda_backward_input_kernelIN3c104HalfEfLi3ELi3ELi3ELin1ELin1ELin1ELin1ELin1ELin1EEEvN5torch10headeronly6detail27GenericPackedTensorAccessorINS7_14TensorAccessorINS3_8ArrayRefIlEEKT_Lm4ENS6_16DefaultPtrTraitsEiEENS_6detail16IndexBoundsCheckILm5EiEESD_Lm5ESE_iEENS8_INS9_ISB_SC_Lm4ESE_iEESI_SC_Lm5ESE_iEESJ_iiiiiiiii.uses_flat_scratch, 0
	.set _ZN2at6native12_GLOBAL__N_143conv_depthwise3d_cuda_backward_input_kernelIN3c104HalfEfLi3ELi3ELi3ELin1ELin1ELin1ELin1ELin1ELin1EEEvN5torch10headeronly6detail27GenericPackedTensorAccessorINS7_14TensorAccessorINS3_8ArrayRefIlEEKT_Lm4ENS6_16DefaultPtrTraitsEiEENS_6detail16IndexBoundsCheckILm5EiEESD_Lm5ESE_iEENS8_INS9_ISB_SC_Lm4ESE_iEESI_SC_Lm5ESE_iEESJ_iiiiiiiii.has_dyn_sized_stack, 0
	.set _ZN2at6native12_GLOBAL__N_143conv_depthwise3d_cuda_backward_input_kernelIN3c104HalfEfLi3ELi3ELi3ELin1ELin1ELin1ELin1ELin1ELin1EEEvN5torch10headeronly6detail27GenericPackedTensorAccessorINS7_14TensorAccessorINS3_8ArrayRefIlEEKT_Lm4ENS6_16DefaultPtrTraitsEiEENS_6detail16IndexBoundsCheckILm5EiEESD_Lm5ESE_iEENS8_INS9_ISB_SC_Lm4ESE_iEESI_SC_Lm5ESE_iEESJ_iiiiiiiii.has_recursion, 0
	.set _ZN2at6native12_GLOBAL__N_143conv_depthwise3d_cuda_backward_input_kernelIN3c104HalfEfLi3ELi3ELi3ELin1ELin1ELin1ELin1ELin1ELin1EEEvN5torch10headeronly6detail27GenericPackedTensorAccessorINS7_14TensorAccessorINS3_8ArrayRefIlEEKT_Lm4ENS6_16DefaultPtrTraitsEiEENS_6detail16IndexBoundsCheckILm5EiEESD_Lm5ESE_iEENS8_INS9_ISB_SC_Lm4ESE_iEESI_SC_Lm5ESE_iEESJ_iiiiiiiii.has_indirect_call, 0
	.section	.AMDGPU.csdata,"",@progbits
; Kernel info:
; codeLenInByte = 6820
; TotalNumSgprs: 106
; NumVgprs: 128
; NumAgprs: 0
; TotalNumVgprs: 128
; ScratchSize: 28
; MemoryBound: 0
; FloatMode: 240
; IeeeMode: 1
; LDSByteSize: 0 bytes/workgroup (compile time only)
; SGPRBlocks: 13
; VGPRBlocks: 15
; NumSGPRsForWavesPerEU: 106
; NumVGPRsForWavesPerEU: 128
; AccumOffset: 128
; Occupancy: 4
; WaveLimiterHint : 0
; COMPUTE_PGM_RSRC2:SCRATCH_EN: 1
; COMPUTE_PGM_RSRC2:USER_SGPR: 2
; COMPUTE_PGM_RSRC2:TRAP_HANDLER: 0
; COMPUTE_PGM_RSRC2:TGID_X_EN: 1
; COMPUTE_PGM_RSRC2:TGID_Y_EN: 0
; COMPUTE_PGM_RSRC2:TGID_Z_EN: 0
; COMPUTE_PGM_RSRC2:TIDIG_COMP_CNT: 0
; COMPUTE_PGM_RSRC3_GFX90A:ACCUM_OFFSET: 31
; COMPUTE_PGM_RSRC3_GFX90A:TG_SPLIT: 0
	.section	.text._ZN2at6native12_GLOBAL__N_143conv_depthwise3d_cuda_backward_input_kernelIN3c104HalfEfLin1ELin1ELin1ELin1ELin1ELin1ELin1ELin1ELin1EEEvN5torch10headeronly6detail27GenericPackedTensorAccessorINS7_14TensorAccessorINS3_8ArrayRefIlEEKT_Lm4ENS6_16DefaultPtrTraitsEiEENS_6detail16IndexBoundsCheckILm5EiEESD_Lm5ESE_iEENS8_INS9_ISB_SC_Lm4ESE_iEESI_SC_Lm5ESE_iEESJ_iiiiiiiii,"axG",@progbits,_ZN2at6native12_GLOBAL__N_143conv_depthwise3d_cuda_backward_input_kernelIN3c104HalfEfLin1ELin1ELin1ELin1ELin1ELin1ELin1ELin1ELin1EEEvN5torch10headeronly6detail27GenericPackedTensorAccessorINS7_14TensorAccessorINS3_8ArrayRefIlEEKT_Lm4ENS6_16DefaultPtrTraitsEiEENS_6detail16IndexBoundsCheckILm5EiEESD_Lm5ESE_iEENS8_INS9_ISB_SC_Lm4ESE_iEESI_SC_Lm5ESE_iEESJ_iiiiiiiii,comdat
	.globl	_ZN2at6native12_GLOBAL__N_143conv_depthwise3d_cuda_backward_input_kernelIN3c104HalfEfLin1ELin1ELin1ELin1ELin1ELin1ELin1ELin1ELin1EEEvN5torch10headeronly6detail27GenericPackedTensorAccessorINS7_14TensorAccessorINS3_8ArrayRefIlEEKT_Lm4ENS6_16DefaultPtrTraitsEiEENS_6detail16IndexBoundsCheckILm5EiEESD_Lm5ESE_iEENS8_INS9_ISB_SC_Lm4ESE_iEESI_SC_Lm5ESE_iEESJ_iiiiiiiii ; -- Begin function _ZN2at6native12_GLOBAL__N_143conv_depthwise3d_cuda_backward_input_kernelIN3c104HalfEfLin1ELin1ELin1ELin1ELin1ELin1ELin1ELin1ELin1EEEvN5torch10headeronly6detail27GenericPackedTensorAccessorINS7_14TensorAccessorINS3_8ArrayRefIlEEKT_Lm4ENS6_16DefaultPtrTraitsEiEENS_6detail16IndexBoundsCheckILm5EiEESD_Lm5ESE_iEENS8_INS9_ISB_SC_Lm4ESE_iEESI_SC_Lm5ESE_iEESJ_iiiiiiiii
	.p2align	8
	.type	_ZN2at6native12_GLOBAL__N_143conv_depthwise3d_cuda_backward_input_kernelIN3c104HalfEfLin1ELin1ELin1ELin1ELin1ELin1ELin1ELin1ELin1EEEvN5torch10headeronly6detail27GenericPackedTensorAccessorINS7_14TensorAccessorINS3_8ArrayRefIlEEKT_Lm4ENS6_16DefaultPtrTraitsEiEENS_6detail16IndexBoundsCheckILm5EiEESD_Lm5ESE_iEENS8_INS9_ISB_SC_Lm4ESE_iEESI_SC_Lm5ESE_iEESJ_iiiiiiiii,@function
_ZN2at6native12_GLOBAL__N_143conv_depthwise3d_cuda_backward_input_kernelIN3c104HalfEfLin1ELin1ELin1ELin1ELin1ELin1ELin1ELin1ELin1EEEvN5torch10headeronly6detail27GenericPackedTensorAccessorINS7_14TensorAccessorINS3_8ArrayRefIlEEKT_Lm4ENS6_16DefaultPtrTraitsEiEENS_6detail16IndexBoundsCheckILm5EiEESD_Lm5ESE_iEENS8_INS9_ISB_SC_Lm4ESE_iEESI_SC_Lm5ESE_iEESJ_iiiiiiiii: ; @_ZN2at6native12_GLOBAL__N_143conv_depthwise3d_cuda_backward_input_kernelIN3c104HalfEfLin1ELin1ELin1ELin1ELin1ELin1ELin1ELin1ELin1EEEvN5torch10headeronly6detail27GenericPackedTensorAccessorINS7_14TensorAccessorINS3_8ArrayRefIlEEKT_Lm4ENS6_16DefaultPtrTraitsEiEENS_6detail16IndexBoundsCheckILm5EiEESD_Lm5ESE_iEENS8_INS9_ISB_SC_Lm4ESE_iEESI_SC_Lm5ESE_iEESJ_iiiiiiiii
; %bb.0:
	s_load_dwordx4 s[20:23], s[0:1], 0x38
	s_load_dwordx2 s[10:11], s[0:1], 0x48
	s_load_dword s4, s[0:1], 0xc4
	v_mov_b32_e32 v3, s2
	v_mov_b32_e32 v1, 0
	s_waitcnt lgkmcnt(0)
	s_abs_i32 s33, s21
	v_cvt_f32_u32_e32 v2, s33
	s_add_u32 s2, s0, 0xb8
	s_mul_i32 s34, s11, s20
	s_addc_u32 s3, s1, 0
	v_rcp_iflag_f32_e32 v2, v2
	s_and_b32 s4, s4, 0xffff
	s_ashr_i32 s35, s34, 31
	v_mad_u64_u32 v[0:1], s[6:7], s4, v3, v[0:1]
	v_mul_f32_e32 v2, 0x4f7ffffe, v2
	v_cvt_u32_f32_e32 v2, v2
	v_cmp_gt_i64_e32 vcc, s[34:35], v[0:1]
	v_readfirstlane_b32 s5, v2
	s_and_saveexec_b64 s[6:7], vcc
	s_cbranch_execz .LBB26_19
; %bb.1:
	s_load_dwordx4 s[24:27], s[0:1], 0xc
	s_load_dwordx2 s[42:43], s[0:1], 0x0
	s_sub_i32 s8, 0, s33
	s_mul_i32 s9, s8, s5
	s_mul_hi_u32 s9, s5, s9
	s_waitcnt lgkmcnt(0)
	s_abs_i32 s7, s24
	s_add_i32 s5, s5, s9
	s_mul_hi_u32 s5, s7, s5
	s_mul_i32 s9, s5, s33
	s_ashr_i32 s20, s21, 31
	s_ashr_i32 s6, s24, 31
	s_load_dwordx8 s[12:19], s[0:1], 0x90
	s_load_dword s24, s[0:1], 0xb0
	s_load_dwordx4 s[28:31], s[0:1], 0x70
	s_sub_i32 s7, s7, s9
	s_xor_b32 s6, s6, s20
	s_add_i32 s9, s5, 1
	s_waitcnt lgkmcnt(0)
	s_sub_i32 s31, s7, s33
	s_cmp_ge_u32 s7, s33
	s_cselect_b32 s5, s9, s5
	s_cselect_b32 s7, s31, s7
	s_add_i32 s9, s5, 1
	s_cmp_ge_u32 s7, s33
	s_cselect_b32 s5, s9, s5
	s_xor_b32 s5, s5, s6
	s_sub_i32 s31, s5, s6
	s_cmp_gt_i32 s28, 0
	s_cselect_b64 s[44:45], -1, 0
	s_cmp_gt_i32 s29, 0
	s_cselect_b64 s[46:47], -1, 0
	;; [unrolled: 2-line block ×4, first 2 shown]
	s_abs_i32 s65, s10
	v_cvt_f32_u32_e32 v3, s65
	s_abs_i32 s67, s23
	v_cvt_f32_u32_e32 v4, s67
	s_load_dword s64, s[0:1], 0x7c
	v_rcp_iflag_f32_e32 v3, v3
	s_load_dword s5, s[2:3], 0x0
	s_load_dwordx2 s[52:53], s[0:1], 0x1c
	s_load_dwordx2 s[54:55], s[0:1], 0x30
	;; [unrolled: 1-line block ×3, first 2 shown]
	s_load_dwordx4 s[36:39], s[0:1], 0x50
	s_sub_i32 s0, 0, s65
	v_mul_f32_e32 v3, 0x4f7ffffe, v3
	v_cvt_u32_f32_e32 v3, v3
	s_abs_i32 s68, s22
	v_rcp_iflag_f32_e32 v4, v4
	s_abs_i32 s71, s12
	v_mul_lo_u32 v5, s0, v3
	v_mul_hi_u32 v5, v3, v5
	v_add_u32_e32 v8, v3, v5
	v_cvt_f32_u32_e32 v3, s68
	v_mul_f32_e32 v4, 0x4f7ffffe, v4
	v_cvt_u32_f32_e32 v4, v4
	s_sub_i32 s0, 0, s67
	v_rcp_iflag_f32_e32 v3, v3
	s_abs_i32 s73, s13
	v_mul_lo_u32 v5, s0, v4
	v_mul_hi_u32 v5, v4, v5
	v_mul_f32_e32 v3, 0x4f7ffffe, v3
	v_cvt_u32_f32_e32 v3, v3
	v_add_u32_e32 v9, v4, v5
	v_cvt_f32_u32_e32 v5, s71
	s_sub_i32 s0, 0, s68
	v_mul_lo_u32 v4, s0, v3
	v_mul_hi_u32 v4, v3, v4
	v_add_u32_e32 v10, v3, v4
	v_rcp_iflag_f32_e32 v4, v5
	v_mul_lo_u32 v3, s8, v2
	v_mul_hi_u32 v3, v2, v3
	v_add_u32_e32 v11, v2, v3
	v_mul_f32_e32 v2, 0x4f7ffffe, v4
	v_cvt_u32_f32_e32 v2, v2
	s_sub_i32 s0, 0, s71
	v_cvt_f32_u32_e32 v3, s73
	s_abs_i32 s74, s14
	v_mul_lo_u32 v4, s0, v2
	v_mul_hi_u32 v4, v2, v4
	v_add_u32_e32 v12, v2, v4
	v_cvt_f32_u32_e32 v2, s74
	v_rcp_iflag_f32_e32 v3, v3
	s_sub_i32 s0, 0, s73
	s_mov_b32 s41, 0
	v_rcp_iflag_f32_e32 v2, v2
	v_mul_f32_e32 v3, 0x4f7ffffe, v3
	v_cvt_u32_f32_e32 v3, v3
	s_waitcnt lgkmcnt(0)
	s_mul_i32 s40, s5, s4
	v_mul_f32_e32 v2, 0x4f7ffffe, v2
	v_cvt_u32_f32_e32 v2, v2
	v_mul_lo_u32 v4, s0, v3
	v_mul_hi_u32 v4, v3, v4
	s_sub_i32 s0, 0, s74
	v_add_u32_e32 v13, v3, v4
	v_mul_lo_u32 v3, s0, v2
	v_mul_hi_u32 v3, v2, v3
	s_ashr_i32 s66, s10, 31
	s_ashr_i32 s69, s23, 31
	s_ashr_i32 s70, s22, 31
	s_ashr_i32 s72, s12, 31
	s_ashr_i32 s75, s13, 31
	s_ashr_i32 s76, s14, 31
	v_add_u32_e32 v14, v2, v3
	s_mov_b64 s[58:59], 0
	s_branch .LBB26_4
.LBB26_2:                               ;   in Loop: Header=BB26_4 Depth=1
	s_or_b64 exec, exec, s[60:61]
	v_cvt_f16_f32_e32 v2, v25
.LBB26_3:                               ;   in Loop: Header=BB26_4 Depth=1
	v_mul_lo_u32 v4, v18, s11
	v_ashrrev_i32_e32 v5, 31, v4
	v_mul_lo_u32 v6, s36, v19
	v_lshl_add_u64 v[4:5], v[4:5], 1, s[54:55]
	v_ashrrev_i32_e32 v7, 31, v6
	v_lshl_add_u64 v[4:5], v[6:7], 1, v[4:5]
	v_mul_lo_u32 v6, s37, v17
	v_ashrrev_i32_e32 v7, 31, v6
	v_lshl_add_u64 v[4:5], v[6:7], 1, v[4:5]
	v_mul_lo_u32 v6, s38, v16
	;; [unrolled: 3-line block ×3, first 2 shown]
	v_lshl_add_u64 v[0:1], v[0:1], 0, s[40:41]
	v_ashrrev_i32_e32 v7, 31, v6
	v_cmp_le_i64_e32 vcc, s[34:35], v[0:1]
	v_lshl_add_u64 v[4:5], v[6:7], 1, v[4:5]
	s_or_b64 s[58:59], vcc, s[58:59]
	global_store_short v[4:5], v2, off
	s_andn2_b64 exec, exec, s[58:59]
	s_cbranch_execz .LBB26_19
.LBB26_4:                               ; =>This Loop Header: Depth=1
                                        ;     Child Loop BB26_7 Depth 2
                                        ;       Child Loop BB26_10 Depth 3
                                        ;         Child Loop BB26_13 Depth 4
                                        ;           Child Loop BB26_16 Depth 5
	v_sub_u32_e32 v3, 0, v0
	v_max_i32_e32 v3, v0, v3
	v_mul_hi_u32 v4, v3, v8
	v_mul_lo_u32 v5, v4, s65
	v_sub_u32_e32 v3, v3, v5
	v_add_u32_e32 v5, 1, v4
	v_cmp_le_u32_e32 vcc, s65, v3
	v_ashrrev_i32_e32 v2, 31, v0
	v_xor_b32_e32 v2, s66, v2
	v_cndmask_b32_e32 v4, v4, v5, vcc
	v_subrev_u32_e32 v5, s65, v3
	v_cndmask_b32_e32 v3, v3, v5, vcc
	v_add_u32_e32 v5, 1, v4
	v_cmp_le_u32_e32 vcc, s65, v3
	s_nop 1
	v_cndmask_b32_e32 v3, v4, v5, vcc
	v_xor_b32_e32 v3, v3, v2
	v_sub_u32_e32 v2, v3, v2
	v_sub_u32_e32 v4, 0, v2
	v_max_i32_e32 v4, v2, v4
	v_mul_hi_u32 v5, v4, v9
	v_mul_lo_u32 v6, v5, s67
	v_sub_u32_e32 v4, v4, v6
	v_add_u32_e32 v6, 1, v5
	v_cmp_le_u32_e32 vcc, s67, v4
	v_mul_lo_u32 v3, v2, s10
	v_sub_u32_e32 v15, v0, v3
	v_cndmask_b32_e32 v5, v5, v6, vcc
	v_subrev_u32_e32 v6, s67, v4
	v_cndmask_b32_e32 v4, v4, v6, vcc
	v_ashrrev_i32_e32 v3, 31, v2
	v_add_u32_e32 v6, 1, v5
	v_cmp_le_u32_e32 vcc, s67, v4
	v_xor_b32_e32 v3, s69, v3
	s_nop 0
	v_cndmask_b32_e32 v4, v5, v6, vcc
	v_xor_b32_e32 v4, v4, v3
	v_sub_u32_e32 v3, v4, v3
	v_mul_lo_u32 v4, v3, s23
	v_sub_u32_e32 v16, v2, v4
	v_sub_u32_e32 v4, 0, v3
	v_max_i32_e32 v4, v3, v4
	v_mul_hi_u32 v5, v4, v10
	v_mul_lo_u32 v6, v5, s68
	v_sub_u32_e32 v4, v4, v6
	v_add_u32_e32 v6, 1, v5
	v_cmp_le_u32_e32 vcc, s68, v4
	v_ashrrev_i32_e32 v2, 31, v3
	v_xor_b32_e32 v2, s70, v2
	v_cndmask_b32_e32 v5, v5, v6, vcc
	v_subrev_u32_e32 v6, s68, v4
	v_cndmask_b32_e32 v4, v4, v6, vcc
	v_add_u32_e32 v6, 1, v5
	v_cmp_le_u32_e32 vcc, s68, v4
	s_nop 1
	v_cndmask_b32_e32 v4, v5, v6, vcc
	v_xor_b32_e32 v4, v4, v2
	v_sub_u32_e32 v2, v4, v2
	v_mul_lo_u32 v4, v2, s22
	v_sub_u32_e32 v17, v3, v4
	v_sub_u32_e32 v4, 0, v2
	v_max_i32_e32 v4, v2, v4
	v_mul_hi_u32 v5, v4, v11
	v_mul_lo_u32 v6, v5, s33
	v_sub_u32_e32 v4, v4, v6
	v_add_u32_e32 v6, 1, v5
	v_cmp_le_u32_e32 vcc, s33, v4
	v_ashrrev_i32_e32 v3, 31, v2
	v_xor_b32_e32 v3, s20, v3
	v_cndmask_b32_e32 v5, v5, v6, vcc
	v_subrev_u32_e32 v6, s33, v4
	v_cndmask_b32_e32 v4, v4, v6, vcc
	v_add_u32_e32 v6, 1, v5
	v_cmp_le_u32_e32 vcc, s33, v4
	s_nop 1
	v_cndmask_b32_e32 v4, v5, v6, vcc
	v_xor_b32_e32 v4, v4, v3
	v_sub_u32_e32 v18, v4, v3
	v_mul_lo_u32 v3, v18, s21
	s_andn2_b64 vcc, exec, s[50:51]
	v_sub_u32_e32 v19, v2, v3
	s_cbranch_vccnz .LBB26_18
; %bb.5:                                ;   in Loop: Header=BB26_4 Depth=1
	v_mul_lo_u32 v23, v19, s31
	v_mul_lo_u32 v2, s64, v23
	;; [unrolled: 1-line block ×3, first 2 shown]
	v_ashrrev_i32_e32 v3, 31, v2
	v_ashrrev_i32_e32 v5, 31, v4
	v_add_u32_e32 v20, s17, v15
	v_add_u32_e32 v21, s16, v16
	;; [unrolled: 1-line block ×4, first 2 shown]
	v_lshl_add_u64 v[2:3], v[2:3], 1, s[56:57]
	v_lshl_add_u64 v[4:5], v[4:5], 1, s[42:43]
	v_mov_b32_e32 v25, 0
	s_mov_b64 s[60:61], 0
	s_branch .LBB26_7
.LBB26_6:                               ;   in Loop: Header=BB26_7 Depth=2
	v_add_u32_e32 v23, 1, v23
	v_cmp_ge_i32_e32 vcc, v23, v24
	s_or_b64 s[60:61], vcc, s[60:61]
	s_andn2_b64 exec, exec, s[60:61]
	s_cbranch_execz .LBB26_2
.LBB26_7:                               ;   Parent Loop BB26_4 Depth=1
                                        ; =>  This Loop Header: Depth=2
                                        ;       Child Loop BB26_10 Depth 3
                                        ;         Child Loop BB26_13 Depth 4
                                        ;           Child Loop BB26_16 Depth 5
	s_andn2_b64 vcc, exec, s[44:45]
	s_cbranch_vccnz .LBB26_6
; %bb.8:                                ;   in Loop: Header=BB26_7 Depth=2
	v_mul_lo_u32 v6, s53, v23
	v_ashrrev_i32_e32 v7, 31, v6
	v_lshl_add_u64 v[6:7], v[6:7], 1, v[4:5]
	s_mov_b32 s77, 0
	s_branch .LBB26_10
.LBB26_9:                               ;   in Loop: Header=BB26_10 Depth=3
	s_add_i32 s77, s77, 1
	s_cmp_eq_u32 s77, s28
	s_cbranch_scc1 .LBB26_6
.LBB26_10:                              ;   Parent Loop BB26_4 Depth=1
                                        ;     Parent Loop BB26_7 Depth=2
                                        ; =>    This Loop Header: Depth=3
                                        ;         Child Loop BB26_13 Depth 4
                                        ;           Child Loop BB26_16 Depth 5
	s_andn2_b64 vcc, exec, s[46:47]
	s_cbranch_vccnz .LBB26_9
; %bb.11:                               ;   in Loop: Header=BB26_10 Depth=3
	s_mul_i32 s0, s18, s77
	v_subrev_u32_e32 v27, s0, v22
	v_sub_u32_e32 v28, 0, v27
	v_max_i32_e32 v28, v27, v28
	v_mul_hi_u32 v29, v28, v12
	v_mul_lo_u32 v30, v29, s71
	v_sub_u32_e32 v28, v28, v30
	v_add_u32_e32 v30, 1, v29
	v_cmp_le_u32_e32 vcc, s71, v28
	v_ashrrev_i32_e32 v26, 31, v27
	v_xor_b32_e32 v26, s72, v26
	v_cndmask_b32_e32 v29, v29, v30, vcc
	v_subrev_u32_e32 v30, s71, v28
	v_cndmask_b32_e32 v28, v28, v30, vcc
	v_add_u32_e32 v30, 1, v29
	v_cmp_le_u32_e32 vcc, s71, v28
	s_mov_b32 s78, 0
	s_nop 0
	v_cndmask_b32_e32 v28, v29, v30, vcc
	v_xor_b32_e32 v28, v28, v26
	v_sub_u32_e32 v28, v28, v26
	v_cmp_lt_i32_e64 s[0:1], -1, v28
	v_cmp_gt_i32_e64 s[2:3], s25, v28
	v_mul_lo_u32 v26, v28, s26
	v_mul_lo_u32 v28, v28, s12
	v_cmp_eq_u32_e64 s[4:5], v28, v27
	s_branch .LBB26_13
.LBB26_12:                              ;   in Loop: Header=BB26_13 Depth=4
	s_add_i32 s78, s78, 1
	s_cmp_eq_u32 s78, s29
	s_cbranch_scc1 .LBB26_9
.LBB26_13:                              ;   Parent Loop BB26_4 Depth=1
                                        ;     Parent Loop BB26_7 Depth=2
                                        ;       Parent Loop BB26_10 Depth=3
                                        ; =>      This Loop Header: Depth=4
                                        ;           Child Loop BB26_16 Depth 5
	s_andn2_b64 vcc, exec, s[48:49]
	s_cbranch_vccnz .LBB26_12
; %bb.14:                               ;   in Loop: Header=BB26_13 Depth=4
	s_mul_i32 s6, s19, s78
	v_subrev_u32_e32 v28, s6, v21
	v_sub_u32_e32 v29, 0, v28
	v_max_i32_e32 v29, v28, v29
	v_mul_hi_u32 v30, v29, v13
	v_mul_lo_u32 v31, v30, s73
	v_sub_u32_e32 v29, v29, v31
	v_add_u32_e32 v31, 1, v30
	v_cmp_le_u32_e32 vcc, s73, v29
	v_ashrrev_i32_e32 v27, 31, v28
	v_xor_b32_e32 v27, s75, v27
	v_cndmask_b32_e32 v30, v30, v31, vcc
	v_subrev_u32_e32 v31, s73, v29
	v_cndmask_b32_e32 v29, v29, v31, vcc
	v_add_u32_e32 v31, 1, v30
	v_cmp_le_u32_e32 vcc, s73, v29
	s_mov_b32 s79, s30
	s_nop 0
	v_cndmask_b32_e32 v29, v30, v31, vcc
	v_xor_b32_e32 v29, v29, v27
	v_sub_u32_e32 v29, v29, v27
	v_cmp_lt_i32_e32 vcc, -1, v29
	v_cmp_gt_i32_e64 s[6:7], s26, v29
	v_add_u32_e32 v27, v29, v26
	v_mul_lo_u32 v29, v29, s13
	v_cmp_eq_u32_e64 s[8:9], v29, v28
	v_mul_lo_u32 v27, v27, s27
	s_and_b64 s[62:63], s[4:5], s[8:9]
	v_mov_b32_e32 v28, v20
	s_branch .LBB26_16
.LBB26_15:                              ;   in Loop: Header=BB26_16 Depth=5
	s_or_b64 exec, exec, s[8:9]
	v_mul_lo_u32 v30, v30, s14
	v_cmp_eq_u32_e64 s[8:9], v28, v30
	s_waitcnt vmcnt(0)
	v_fma_mix_f32 v29, v31, v29, v25 op_sel_hi:[0,1,0]
	s_and_b64 s[8:9], s[62:63], s[8:9]
	s_add_i32 s79, s79, -1
	v_lshl_add_u64 v[2:3], v[2:3], 0, 2
	v_cndmask_b32_e64 v25, v25, v29, s[8:9]
	s_cmp_eq_u32 s79, 0
	v_subrev_u32_e32 v28, s24, v28
	s_cbranch_scc1 .LBB26_12
.LBB26_16:                              ;   Parent Loop BB26_4 Depth=1
                                        ;     Parent Loop BB26_7 Depth=2
                                        ;       Parent Loop BB26_10 Depth=3
                                        ;         Parent Loop BB26_13 Depth=4
                                        ; =>        This Inner Loop Header: Depth=5
	global_load_ushort v29, v[2:3], off
	v_sub_u32_e32 v31, 0, v28
	v_max_i32_e32 v31, v28, v31
	v_mul_hi_u32 v32, v31, v14
	v_mul_lo_u32 v33, v32, s74
	v_sub_u32_e32 v31, v31, v33
	v_add_u32_e32 v33, 1, v32
	v_cmp_le_u32_e64 s[8:9], s74, v31
	v_ashrrev_i32_e32 v30, 31, v28
	v_xor_b32_e32 v30, s76, v30
	v_cndmask_b32_e64 v32, v32, v33, s[8:9]
	v_subrev_u32_e32 v33, s74, v31
	v_cndmask_b32_e64 v31, v31, v33, s[8:9]
	v_add_u32_e32 v33, 1, v32
	v_cmp_le_u32_e64 s[8:9], s74, v31
	s_nop 1
	v_cndmask_b32_e64 v31, v32, v33, s[8:9]
	v_xor_b32_e32 v31, v31, v30
	v_sub_u32_e32 v30, v31, v30
	v_cmp_lt_i32_e64 s[8:9], -1, v30
	s_and_b64 s[8:9], s[8:9], vcc
	s_and_b64 s[80:81], s[8:9], s[0:1]
	v_cmp_gt_i32_e64 s[8:9], s27, v30
	s_and_b64 s[8:9], s[8:9], s[80:81]
	s_and_b64 s[8:9], s[8:9], s[6:7]
	;; [unrolled: 1-line block ×3, first 2 shown]
	v_mov_b32_e32 v31, 0
	s_and_saveexec_b64 s[8:9], s[80:81]
	s_cbranch_execz .LBB26_15
; %bb.17:                               ;   in Loop: Header=BB26_16 Depth=5
	v_add_u32_e32 v32, v30, v27
	v_ashrrev_i32_e32 v33, 31, v32
	v_lshl_add_u64 v[32:33], v[32:33], 1, v[6:7]
	global_load_ushort v31, v[32:33], off
	s_waitcnt vmcnt(0)
	v_cvt_f32_f16_e32 v31, v31
	s_branch .LBB26_15
.LBB26_18:                              ;   in Loop: Header=BB26_4 Depth=1
	v_mov_b32_e32 v2, 0
	s_branch .LBB26_3
.LBB26_19:
	s_endpgm
	.section	.rodata,"a",@progbits
	.p2align	6, 0x0
	.amdhsa_kernel _ZN2at6native12_GLOBAL__N_143conv_depthwise3d_cuda_backward_input_kernelIN3c104HalfEfLin1ELin1ELin1ELin1ELin1ELin1ELin1ELin1ELin1EEEvN5torch10headeronly6detail27GenericPackedTensorAccessorINS7_14TensorAccessorINS3_8ArrayRefIlEEKT_Lm4ENS6_16DefaultPtrTraitsEiEENS_6detail16IndexBoundsCheckILm5EiEESD_Lm5ESE_iEENS8_INS9_ISB_SC_Lm4ESE_iEESI_SC_Lm5ESE_iEESJ_iiiiiiiii
		.amdhsa_group_segment_fixed_size 0
		.amdhsa_private_segment_fixed_size 0
		.amdhsa_kernarg_size 440
		.amdhsa_user_sgpr_count 2
		.amdhsa_user_sgpr_dispatch_ptr 0
		.amdhsa_user_sgpr_queue_ptr 0
		.amdhsa_user_sgpr_kernarg_segment_ptr 1
		.amdhsa_user_sgpr_dispatch_id 0
		.amdhsa_user_sgpr_kernarg_preload_length 0
		.amdhsa_user_sgpr_kernarg_preload_offset 0
		.amdhsa_user_sgpr_private_segment_size 0
		.amdhsa_uses_dynamic_stack 0
		.amdhsa_enable_private_segment 0
		.amdhsa_system_sgpr_workgroup_id_x 1
		.amdhsa_system_sgpr_workgroup_id_y 0
		.amdhsa_system_sgpr_workgroup_id_z 0
		.amdhsa_system_sgpr_workgroup_info 0
		.amdhsa_system_vgpr_workitem_id 0
		.amdhsa_next_free_vgpr 34
		.amdhsa_next_free_sgpr 82
		.amdhsa_accum_offset 36
		.amdhsa_reserve_vcc 1
		.amdhsa_float_round_mode_32 0
		.amdhsa_float_round_mode_16_64 0
		.amdhsa_float_denorm_mode_32 3
		.amdhsa_float_denorm_mode_16_64 3
		.amdhsa_dx10_clamp 1
		.amdhsa_ieee_mode 1
		.amdhsa_fp16_overflow 0
		.amdhsa_tg_split 0
		.amdhsa_exception_fp_ieee_invalid_op 0
		.amdhsa_exception_fp_denorm_src 0
		.amdhsa_exception_fp_ieee_div_zero 0
		.amdhsa_exception_fp_ieee_overflow 0
		.amdhsa_exception_fp_ieee_underflow 0
		.amdhsa_exception_fp_ieee_inexact 0
		.amdhsa_exception_int_div_zero 0
	.end_amdhsa_kernel
	.section	.text._ZN2at6native12_GLOBAL__N_143conv_depthwise3d_cuda_backward_input_kernelIN3c104HalfEfLin1ELin1ELin1ELin1ELin1ELin1ELin1ELin1ELin1EEEvN5torch10headeronly6detail27GenericPackedTensorAccessorINS7_14TensorAccessorINS3_8ArrayRefIlEEKT_Lm4ENS6_16DefaultPtrTraitsEiEENS_6detail16IndexBoundsCheckILm5EiEESD_Lm5ESE_iEENS8_INS9_ISB_SC_Lm4ESE_iEESI_SC_Lm5ESE_iEESJ_iiiiiiiii,"axG",@progbits,_ZN2at6native12_GLOBAL__N_143conv_depthwise3d_cuda_backward_input_kernelIN3c104HalfEfLin1ELin1ELin1ELin1ELin1ELin1ELin1ELin1ELin1EEEvN5torch10headeronly6detail27GenericPackedTensorAccessorINS7_14TensorAccessorINS3_8ArrayRefIlEEKT_Lm4ENS6_16DefaultPtrTraitsEiEENS_6detail16IndexBoundsCheckILm5EiEESD_Lm5ESE_iEENS8_INS9_ISB_SC_Lm4ESE_iEESI_SC_Lm5ESE_iEESJ_iiiiiiiii,comdat
.Lfunc_end26:
	.size	_ZN2at6native12_GLOBAL__N_143conv_depthwise3d_cuda_backward_input_kernelIN3c104HalfEfLin1ELin1ELin1ELin1ELin1ELin1ELin1ELin1ELin1EEEvN5torch10headeronly6detail27GenericPackedTensorAccessorINS7_14TensorAccessorINS3_8ArrayRefIlEEKT_Lm4ENS6_16DefaultPtrTraitsEiEENS_6detail16IndexBoundsCheckILm5EiEESD_Lm5ESE_iEENS8_INS9_ISB_SC_Lm4ESE_iEESI_SC_Lm5ESE_iEESJ_iiiiiiiii, .Lfunc_end26-_ZN2at6native12_GLOBAL__N_143conv_depthwise3d_cuda_backward_input_kernelIN3c104HalfEfLin1ELin1ELin1ELin1ELin1ELin1ELin1ELin1ELin1EEEvN5torch10headeronly6detail27GenericPackedTensorAccessorINS7_14TensorAccessorINS3_8ArrayRefIlEEKT_Lm4ENS6_16DefaultPtrTraitsEiEENS_6detail16IndexBoundsCheckILm5EiEESD_Lm5ESE_iEENS8_INS9_ISB_SC_Lm4ESE_iEESI_SC_Lm5ESE_iEESJ_iiiiiiiii
                                        ; -- End function
	.set _ZN2at6native12_GLOBAL__N_143conv_depthwise3d_cuda_backward_input_kernelIN3c104HalfEfLin1ELin1ELin1ELin1ELin1ELin1ELin1ELin1ELin1EEEvN5torch10headeronly6detail27GenericPackedTensorAccessorINS7_14TensorAccessorINS3_8ArrayRefIlEEKT_Lm4ENS6_16DefaultPtrTraitsEiEENS_6detail16IndexBoundsCheckILm5EiEESD_Lm5ESE_iEENS8_INS9_ISB_SC_Lm4ESE_iEESI_SC_Lm5ESE_iEESJ_iiiiiiiii.num_vgpr, 34
	.set _ZN2at6native12_GLOBAL__N_143conv_depthwise3d_cuda_backward_input_kernelIN3c104HalfEfLin1ELin1ELin1ELin1ELin1ELin1ELin1ELin1ELin1EEEvN5torch10headeronly6detail27GenericPackedTensorAccessorINS7_14TensorAccessorINS3_8ArrayRefIlEEKT_Lm4ENS6_16DefaultPtrTraitsEiEENS_6detail16IndexBoundsCheckILm5EiEESD_Lm5ESE_iEENS8_INS9_ISB_SC_Lm4ESE_iEESI_SC_Lm5ESE_iEESJ_iiiiiiiii.num_agpr, 0
	.set _ZN2at6native12_GLOBAL__N_143conv_depthwise3d_cuda_backward_input_kernelIN3c104HalfEfLin1ELin1ELin1ELin1ELin1ELin1ELin1ELin1ELin1EEEvN5torch10headeronly6detail27GenericPackedTensorAccessorINS7_14TensorAccessorINS3_8ArrayRefIlEEKT_Lm4ENS6_16DefaultPtrTraitsEiEENS_6detail16IndexBoundsCheckILm5EiEESD_Lm5ESE_iEENS8_INS9_ISB_SC_Lm4ESE_iEESI_SC_Lm5ESE_iEESJ_iiiiiiiii.numbered_sgpr, 82
	.set _ZN2at6native12_GLOBAL__N_143conv_depthwise3d_cuda_backward_input_kernelIN3c104HalfEfLin1ELin1ELin1ELin1ELin1ELin1ELin1ELin1ELin1EEEvN5torch10headeronly6detail27GenericPackedTensorAccessorINS7_14TensorAccessorINS3_8ArrayRefIlEEKT_Lm4ENS6_16DefaultPtrTraitsEiEENS_6detail16IndexBoundsCheckILm5EiEESD_Lm5ESE_iEENS8_INS9_ISB_SC_Lm4ESE_iEESI_SC_Lm5ESE_iEESJ_iiiiiiiii.num_named_barrier, 0
	.set _ZN2at6native12_GLOBAL__N_143conv_depthwise3d_cuda_backward_input_kernelIN3c104HalfEfLin1ELin1ELin1ELin1ELin1ELin1ELin1ELin1ELin1EEEvN5torch10headeronly6detail27GenericPackedTensorAccessorINS7_14TensorAccessorINS3_8ArrayRefIlEEKT_Lm4ENS6_16DefaultPtrTraitsEiEENS_6detail16IndexBoundsCheckILm5EiEESD_Lm5ESE_iEENS8_INS9_ISB_SC_Lm4ESE_iEESI_SC_Lm5ESE_iEESJ_iiiiiiiii.private_seg_size, 0
	.set _ZN2at6native12_GLOBAL__N_143conv_depthwise3d_cuda_backward_input_kernelIN3c104HalfEfLin1ELin1ELin1ELin1ELin1ELin1ELin1ELin1ELin1EEEvN5torch10headeronly6detail27GenericPackedTensorAccessorINS7_14TensorAccessorINS3_8ArrayRefIlEEKT_Lm4ENS6_16DefaultPtrTraitsEiEENS_6detail16IndexBoundsCheckILm5EiEESD_Lm5ESE_iEENS8_INS9_ISB_SC_Lm4ESE_iEESI_SC_Lm5ESE_iEESJ_iiiiiiiii.uses_vcc, 1
	.set _ZN2at6native12_GLOBAL__N_143conv_depthwise3d_cuda_backward_input_kernelIN3c104HalfEfLin1ELin1ELin1ELin1ELin1ELin1ELin1ELin1ELin1EEEvN5torch10headeronly6detail27GenericPackedTensorAccessorINS7_14TensorAccessorINS3_8ArrayRefIlEEKT_Lm4ENS6_16DefaultPtrTraitsEiEENS_6detail16IndexBoundsCheckILm5EiEESD_Lm5ESE_iEENS8_INS9_ISB_SC_Lm4ESE_iEESI_SC_Lm5ESE_iEESJ_iiiiiiiii.uses_flat_scratch, 0
	.set _ZN2at6native12_GLOBAL__N_143conv_depthwise3d_cuda_backward_input_kernelIN3c104HalfEfLin1ELin1ELin1ELin1ELin1ELin1ELin1ELin1ELin1EEEvN5torch10headeronly6detail27GenericPackedTensorAccessorINS7_14TensorAccessorINS3_8ArrayRefIlEEKT_Lm4ENS6_16DefaultPtrTraitsEiEENS_6detail16IndexBoundsCheckILm5EiEESD_Lm5ESE_iEENS8_INS9_ISB_SC_Lm4ESE_iEESI_SC_Lm5ESE_iEESJ_iiiiiiiii.has_dyn_sized_stack, 0
	.set _ZN2at6native12_GLOBAL__N_143conv_depthwise3d_cuda_backward_input_kernelIN3c104HalfEfLin1ELin1ELin1ELin1ELin1ELin1ELin1ELin1ELin1EEEvN5torch10headeronly6detail27GenericPackedTensorAccessorINS7_14TensorAccessorINS3_8ArrayRefIlEEKT_Lm4ENS6_16DefaultPtrTraitsEiEENS_6detail16IndexBoundsCheckILm5EiEESD_Lm5ESE_iEENS8_INS9_ISB_SC_Lm4ESE_iEESI_SC_Lm5ESE_iEESJ_iiiiiiiii.has_recursion, 0
	.set _ZN2at6native12_GLOBAL__N_143conv_depthwise3d_cuda_backward_input_kernelIN3c104HalfEfLin1ELin1ELin1ELin1ELin1ELin1ELin1ELin1ELin1EEEvN5torch10headeronly6detail27GenericPackedTensorAccessorINS7_14TensorAccessorINS3_8ArrayRefIlEEKT_Lm4ENS6_16DefaultPtrTraitsEiEENS_6detail16IndexBoundsCheckILm5EiEESD_Lm5ESE_iEENS8_INS9_ISB_SC_Lm4ESE_iEESI_SC_Lm5ESE_iEESJ_iiiiiiiii.has_indirect_call, 0
	.section	.AMDGPU.csdata,"",@progbits
; Kernel info:
; codeLenInByte = 1916
; TotalNumSgprs: 88
; NumVgprs: 34
; NumAgprs: 0
; TotalNumVgprs: 34
; ScratchSize: 0
; MemoryBound: 0
; FloatMode: 240
; IeeeMode: 1
; LDSByteSize: 0 bytes/workgroup (compile time only)
; SGPRBlocks: 10
; VGPRBlocks: 4
; NumSGPRsForWavesPerEU: 88
; NumVGPRsForWavesPerEU: 34
; AccumOffset: 36
; Occupancy: 8
; WaveLimiterHint : 0
; COMPUTE_PGM_RSRC2:SCRATCH_EN: 0
; COMPUTE_PGM_RSRC2:USER_SGPR: 2
; COMPUTE_PGM_RSRC2:TRAP_HANDLER: 0
; COMPUTE_PGM_RSRC2:TGID_X_EN: 1
; COMPUTE_PGM_RSRC2:TGID_Y_EN: 0
; COMPUTE_PGM_RSRC2:TGID_Z_EN: 0
; COMPUTE_PGM_RSRC2:TIDIG_COMP_CNT: 0
; COMPUTE_PGM_RSRC3_GFX90A:ACCUM_OFFSET: 8
; COMPUTE_PGM_RSRC3_GFX90A:TG_SPLIT: 0
	.section	.text._ZN2at6native12_GLOBAL__N_143conv_depthwise3d_cuda_backward_input_kernelIN3c108BFloat16EfLi3ELi3ELi3ELi1ELi1ELi1ELi1ELi1ELi1EEEvN5torch10headeronly6detail27GenericPackedTensorAccessorINS7_14TensorAccessorINS3_8ArrayRefIlEEKT_Lm4ENS6_16DefaultPtrTraitsEiEENS_6detail16IndexBoundsCheckILm5EiEESD_Lm5ESE_iEENS8_INS9_ISB_SC_Lm4ESE_iEESI_SC_Lm5ESE_iEESJ_iiiiiiiii,"axG",@progbits,_ZN2at6native12_GLOBAL__N_143conv_depthwise3d_cuda_backward_input_kernelIN3c108BFloat16EfLi3ELi3ELi3ELi1ELi1ELi1ELi1ELi1ELi1EEEvN5torch10headeronly6detail27GenericPackedTensorAccessorINS7_14TensorAccessorINS3_8ArrayRefIlEEKT_Lm4ENS6_16DefaultPtrTraitsEiEENS_6detail16IndexBoundsCheckILm5EiEESD_Lm5ESE_iEENS8_INS9_ISB_SC_Lm4ESE_iEESI_SC_Lm5ESE_iEESJ_iiiiiiiii,comdat
	.globl	_ZN2at6native12_GLOBAL__N_143conv_depthwise3d_cuda_backward_input_kernelIN3c108BFloat16EfLi3ELi3ELi3ELi1ELi1ELi1ELi1ELi1ELi1EEEvN5torch10headeronly6detail27GenericPackedTensorAccessorINS7_14TensorAccessorINS3_8ArrayRefIlEEKT_Lm4ENS6_16DefaultPtrTraitsEiEENS_6detail16IndexBoundsCheckILm5EiEESD_Lm5ESE_iEENS8_INS9_ISB_SC_Lm4ESE_iEESI_SC_Lm5ESE_iEESJ_iiiiiiiii ; -- Begin function _ZN2at6native12_GLOBAL__N_143conv_depthwise3d_cuda_backward_input_kernelIN3c108BFloat16EfLi3ELi3ELi3ELi1ELi1ELi1ELi1ELi1ELi1EEEvN5torch10headeronly6detail27GenericPackedTensorAccessorINS7_14TensorAccessorINS3_8ArrayRefIlEEKT_Lm4ENS6_16DefaultPtrTraitsEiEENS_6detail16IndexBoundsCheckILm5EiEESD_Lm5ESE_iEENS8_INS9_ISB_SC_Lm4ESE_iEESI_SC_Lm5ESE_iEESJ_iiiiiiiii
	.p2align	8
	.type	_ZN2at6native12_GLOBAL__N_143conv_depthwise3d_cuda_backward_input_kernelIN3c108BFloat16EfLi3ELi3ELi3ELi1ELi1ELi1ELi1ELi1ELi1EEEvN5torch10headeronly6detail27GenericPackedTensorAccessorINS7_14TensorAccessorINS3_8ArrayRefIlEEKT_Lm4ENS6_16DefaultPtrTraitsEiEENS_6detail16IndexBoundsCheckILm5EiEESD_Lm5ESE_iEENS8_INS9_ISB_SC_Lm4ESE_iEESI_SC_Lm5ESE_iEESJ_iiiiiiiii,@function
_ZN2at6native12_GLOBAL__N_143conv_depthwise3d_cuda_backward_input_kernelIN3c108BFloat16EfLi3ELi3ELi3ELi1ELi1ELi1ELi1ELi1ELi1EEEvN5torch10headeronly6detail27GenericPackedTensorAccessorINS7_14TensorAccessorINS3_8ArrayRefIlEEKT_Lm4ENS6_16DefaultPtrTraitsEiEENS_6detail16IndexBoundsCheckILm5EiEESD_Lm5ESE_iEENS8_INS9_ISB_SC_Lm4ESE_iEESI_SC_Lm5ESE_iEESJ_iiiiiiiii: ; @_ZN2at6native12_GLOBAL__N_143conv_depthwise3d_cuda_backward_input_kernelIN3c108BFloat16EfLi3ELi3ELi3ELi1ELi1ELi1ELi1ELi1ELi1EEEvN5torch10headeronly6detail27GenericPackedTensorAccessorINS7_14TensorAccessorINS3_8ArrayRefIlEEKT_Lm4ENS6_16DefaultPtrTraitsEiEENS_6detail16IndexBoundsCheckILm5EiEESD_Lm5ESE_iEENS8_INS9_ISB_SC_Lm4ESE_iEESI_SC_Lm5ESE_iEESJ_iiiiiiiii
; %bb.0:
	s_load_dwordx4 s[12:15], s[0:1], 0x38
	s_load_dwordx2 s[28:29], s[0:1], 0x48
	s_load_dword s4, s[0:1], 0xc4
	v_mov_b32_e32 v3, s2
	v_mov_b32_e32 v1, 0
	s_waitcnt lgkmcnt(0)
	s_abs_i32 s33, s13
	v_cvt_f32_u32_e32 v2, s33
	s_add_u32 s2, s0, 0xb8
	s_mul_i32 s30, s29, s12
	s_addc_u32 s3, s1, 0
	v_rcp_iflag_f32_e32 v2, v2
	s_and_b32 s4, s4, 0xffff
	s_ashr_i32 s31, s30, 31
	v_mad_u64_u32 v[0:1], s[6:7], s4, v3, v[0:1]
	v_mul_f32_e32 v2, 0x4f7ffffe, v2
	v_cvt_u32_f32_e32 v2, v2
	v_cmp_gt_i64_e32 vcc, s[30:31], v[0:1]
	v_readfirstlane_b32 s5, v2
	s_and_saveexec_b64 s[6:7], vcc
	s_cbranch_execz .LBB27_62
; %bb.1:
	s_load_dwordx4 s[16:19], s[0:1], 0xc
	s_load_dwordx2 s[6:7], s[0:1], 0x0
	s_sub_i32 s8, 0, s33
                                        ; implicit-def: $vgpr127 : SGPR spill to VGPR lane
	s_mul_i32 s9, s8, s5
	s_mul_hi_u32 s9, s5, s9
	s_add_i32 s5, s5, s9
	s_waitcnt lgkmcnt(0)
	v_writelane_b32 v127, s6, 0
	s_ashr_i32 s12, s13, 31
	s_load_dwordx4 s[20:23], s[0:1], 0x9c
	v_writelane_b32 v127, s7, 1
	s_abs_i32 s7, s16
	s_mul_hi_u32 s5, s7, s5
	s_mul_i32 s9, s5, s33
	s_ashr_i32 s6, s16, 31
	s_sub_i32 s7, s7, s9
	s_xor_b32 s6, s6, s12
	s_add_i32 s9, s5, 1
	s_sub_i32 s10, s7, s33
	s_cmp_ge_u32 s7, s33
	s_cselect_b32 s5, s9, s5
	s_cselect_b32 s7, s10, s7
	s_add_i32 s9, s5, 1
	s_cmp_ge_u32 s7, s33
	s_cselect_b32 s5, s9, s5
	s_xor_b32 s5, s5, s6
	s_sub_i32 s16, s5, s6
	s_cmp_gt_i32 s16, 0
	s_load_dword s5, s[2:3], 0x0
	s_cselect_b64 s[2:3], -1, 0
	s_abs_i32 s94, s28
	v_cvt_f32_u32_e32 v3, s94
	s_waitcnt lgkmcnt(0)
	s_load_dword s23, s[0:1], 0x7c
	s_load_dwordx2 s[38:39], s[0:1], 0x1c
	s_load_dwordx2 s[40:41], s[0:1], 0x30
	;; [unrolled: 1-line block ×3, first 2 shown]
	s_load_dwordx4 s[24:27], s[0:1], 0x50
	s_abs_i32 s96, s15
	v_rcp_iflag_f32_e32 v3, v3
	s_sub_i32 s0, 0, s94
	v_cvt_f32_u32_e32 v4, s96
	s_abs_i32 s97, s14
	v_mul_f32_e32 v3, 0x4f7ffffe, v3
	v_cvt_u32_f32_e32 v3, v3
	v_rcp_iflag_f32_e32 v4, v4
	s_mov_b32 s35, 0
	s_mul_i32 s34, s5, s4
	v_mul_lo_u32 v5, s0, v3
	v_mul_hi_u32 v5, v3, v5
	v_add_u32_e32 v3, v3, v5
	scratch_store_dword off, v3, off        ; 4-byte Folded Spill
	v_cvt_f32_u32_e32 v3, s97
	v_mul_f32_e32 v4, 0x4f7ffffe, v4
	v_cvt_u32_f32_e32 v4, v4
	s_sub_i32 s0, 0, s96
	v_rcp_iflag_f32_e32 v3, v3
	s_ashr_i32 s95, s28, 31
	v_mul_lo_u32 v5, s0, v4
	v_mul_hi_u32 v5, v4, v5
	v_mul_f32_e32 v3, 0x4f7ffffe, v3
	v_cvt_u32_f32_e32 v3, v3
	v_add_u32_e32 v4, v4, v5
	s_sub_i32 s0, 0, s97
	scratch_store_dword off, v4, off offset:4 ; 4-byte Folded Spill
	v_mul_lo_u32 v4, s0, v3
	v_mul_hi_u32 v4, v3, v4
	v_add_u32_e32 v66, v3, v4
	v_mul_lo_u32 v3, s8, v2
	v_mul_hi_u32 v3, v2, v3
	v_add_u32_e32 v67, v2, v3
	v_cndmask_b32_e64 v2, 0, 1, s[2:3]
	s_ashr_i32 s98, s15, 31
	s_ashr_i32 s99, s14, 31
	s_mov_b64 s[44:45], 0
	v_cmp_ne_u32_e64 s[0:1], 1, v2
	s_branch .LBB27_4
.LBB27_2:                               ;   in Loop: Header=BB27_4 Depth=1
	s_or_b64 exec, exec, s[90:91]
.LBB27_3:                               ;   in Loop: Header=BB27_4 Depth=1
	v_bfe_u32 v2, v74, 16, 1
	s_movk_i32 s2, 0x7fff
	v_add3_u32 v2, v74, v2, s2
	v_cmp_o_f32_e32 vcc, v74, v74
	v_mov_b32_e32 v3, 0x7fc0
	s_waitcnt lgkmcnt(0)
	v_mul_lo_u32 v4, s24, v71
	v_cndmask_b32_sdwa v6, v3, v2, vcc dst_sel:DWORD dst_unused:UNUSED_PAD src0_sel:DWORD src1_sel:WORD_1
	v_mul_lo_u32 v2, v72, s29
	v_ashrrev_i32_e32 v3, 31, v2
	v_lshl_add_u64 v[2:3], v[2:3], 1, s[40:41]
	v_ashrrev_i32_e32 v5, 31, v4
	v_lshl_add_u64 v[2:3], v[4:5], 1, v[2:3]
	v_mul_lo_u32 v4, s25, v70
	v_ashrrev_i32_e32 v5, 31, v4
	v_lshl_add_u64 v[2:3], v[4:5], 1, v[2:3]
	v_mul_lo_u32 v4, s26, v69
	;; [unrolled: 3-line block ×3, first 2 shown]
	v_lshl_add_u64 v[0:1], v[0:1], 0, s[34:35]
	v_ashrrev_i32_e32 v5, 31, v4
	v_cmp_le_i64_e32 vcc, s[30:31], v[0:1]
	v_lshl_add_u64 v[2:3], v[4:5], 1, v[2:3]
	s_or_b64 s[44:45], vcc, s[44:45]
	global_store_short v[2:3], v6, off
	s_andn2_b64 exec, exec, s[44:45]
	s_cbranch_execz .LBB27_62
.LBB27_4:                               ; =>This Loop Header: Depth=1
                                        ;     Child Loop BB27_7 Depth 2
	scratch_load_dword v4, off, off         ; 4-byte Folded Reload
	v_sub_u32_e32 v3, 0, v0
	v_max_i32_e32 v3, v0, v3
	v_ashrrev_i32_e32 v2, 31, v0
	v_xor_b32_e32 v2, s95, v2
	s_waitcnt vmcnt(0)
	v_mul_hi_u32 v4, v3, v4
	v_mul_lo_u32 v5, v4, s94
	v_sub_u32_e32 v3, v3, v5
	v_add_u32_e32 v5, 1, v4
	v_cmp_le_u32_e32 vcc, s94, v3
	s_nop 1
	v_cndmask_b32_e32 v4, v4, v5, vcc
	v_subrev_u32_e32 v5, s94, v3
	v_cndmask_b32_e32 v3, v3, v5, vcc
	v_add_u32_e32 v5, 1, v4
	v_cmp_le_u32_e32 vcc, s94, v3
	s_nop 1
	v_cndmask_b32_e32 v3, v4, v5, vcc
	scratch_load_dword v5, off, off offset:4 ; 4-byte Folded Reload
	v_xor_b32_e32 v3, v3, v2
	v_sub_u32_e32 v2, v3, v2
	v_sub_u32_e32 v4, 0, v2
	v_max_i32_e32 v4, v2, v4
	v_mul_lo_u32 v3, v2, s28
	v_sub_u32_e32 v68, v0, v3
	v_ashrrev_i32_e32 v3, 31, v2
	v_xor_b32_e32 v3, s98, v3
	s_waitcnt vmcnt(0)
	v_mul_hi_u32 v5, v4, v5
	v_mul_lo_u32 v6, v5, s96
	v_sub_u32_e32 v4, v4, v6
	v_add_u32_e32 v6, 1, v5
	v_cmp_le_u32_e32 vcc, s96, v4
	s_nop 1
	v_cndmask_b32_e32 v5, v5, v6, vcc
	v_subrev_u32_e32 v6, s96, v4
	v_cndmask_b32_e32 v4, v4, v6, vcc
	v_add_u32_e32 v6, 1, v5
	v_cmp_le_u32_e32 vcc, s96, v4
	s_nop 1
	v_cndmask_b32_e32 v4, v5, v6, vcc
	v_xor_b32_e32 v4, v4, v3
	v_sub_u32_e32 v3, v4, v3
	v_mul_lo_u32 v4, v3, s15
	v_sub_u32_e32 v69, v2, v4
	v_sub_u32_e32 v4, 0, v3
	v_max_i32_e32 v4, v3, v4
	v_mul_hi_u32 v5, v4, v66
	v_mul_lo_u32 v6, v5, s97
	v_sub_u32_e32 v4, v4, v6
	v_add_u32_e32 v6, 1, v5
	v_cmp_le_u32_e32 vcc, s97, v4
	v_ashrrev_i32_e32 v2, 31, v3
	v_xor_b32_e32 v2, s99, v2
	v_cndmask_b32_e32 v5, v5, v6, vcc
	v_subrev_u32_e32 v6, s97, v4
	v_cndmask_b32_e32 v4, v4, v6, vcc
	v_add_u32_e32 v6, 1, v5
	v_cmp_le_u32_e32 vcc, s97, v4
	s_nop 1
	v_cndmask_b32_e32 v4, v5, v6, vcc
	v_xor_b32_e32 v4, v4, v2
	v_sub_u32_e32 v2, v4, v2
	v_mul_lo_u32 v4, v2, s14
	v_sub_u32_e32 v70, v3, v4
	v_sub_u32_e32 v4, 0, v2
	v_max_i32_e32 v4, v2, v4
	v_mul_hi_u32 v5, v4, v67
	v_mul_lo_u32 v6, v5, s33
	v_sub_u32_e32 v4, v4, v6
	v_add_u32_e32 v6, 1, v5
	v_cmp_le_u32_e32 vcc, s33, v4
	v_ashrrev_i32_e32 v3, 31, v2
	v_xor_b32_e32 v3, s12, v3
	v_cndmask_b32_e32 v5, v5, v6, vcc
	v_subrev_u32_e32 v6, s33, v4
	v_cndmask_b32_e32 v4, v4, v6, vcc
	v_add_u32_e32 v6, 1, v5
	v_cmp_le_u32_e32 vcc, s33, v4
	s_nop 1
	v_cndmask_b32_e32 v4, v5, v6, vcc
	v_xor_b32_e32 v4, v4, v3
	v_sub_u32_e32 v72, v4, v3
	v_mul_lo_u32 v3, v72, s13
	s_and_b64 vcc, exec, s[0:1]
	v_sub_u32_e32 v71, v2, v3
	s_cbranch_vccnz .LBB27_61
; %bb.5:                                ;   in Loop: Header=BB27_4 Depth=1
	v_add_u32_e32 v5, s20, v70
	v_add_u32_e32 v7, s21, v69
	v_mul_lo_u32 v9, v5, s18
	v_add_u32_e32 v54, s22, v68
	v_add_u32_e32 v2, v7, v9
	v_mul_lo_u32 v6, v2, s19
	v_or_b32_e32 v2, v54, v7
	v_add_u32_e32 v15, -2, v5
	v_add_u32_e32 v19, -1, v5
	v_cmp_gt_i32_e64 s[2:3], s18, v7
	v_or_b32_e32 v17, v2, v15
	v_or_b32_e32 v20, v2, v19
	;; [unrolled: 1-line block ×3, first 2 shown]
	v_cmp_gt_i32_e64 s[6:7], s19, v54
	v_add_u32_e32 v56, -1, v54
	v_cmp_lt_i32_e64 s[4:5], -1, v2
	s_and_b64 s[76:77], s[6:7], s[2:3]
	v_or_b32_e32 v4, v56, v7
	v_cmp_gt_i32_e32 vcc, s17, v5
	s_and_b64 s[4:5], s[76:77], s[4:5]
	v_or_b32_e32 v21, v4, v15
	v_or_b32_e32 v22, v4, v19
	;; [unrolled: 1-line block ×3, first 2 shown]
	v_cmp_gt_i32_e64 s[8:9], s19, v56
	v_add_u32_e32 v58, -2, v54
	s_and_b64 s[46:47], s[4:5], vcc
	v_cmp_lt_i32_e64 s[4:5], -1, v4
	s_and_b64 s[78:79], s[8:9], s[2:3]
	v_or_b32_e32 v14, v58, v7
	s_and_b64 s[4:5], s[78:79], s[4:5]
	v_or_b32_e32 v23, v14, v15
	v_or_b32_e32 v24, v14, v19
	;; [unrolled: 1-line block ×3, first 2 shown]
	v_cmp_gt_i32_e64 s[10:11], s19, v58
	v_add_u32_e32 v13, -1, v7
	s_and_b64 s[48:49], s[4:5], vcc
	v_cmp_lt_i32_e64 s[4:5], -1, v14
	s_and_b64 s[80:81], s[10:11], s[2:3]
	v_or_b32_e32 v8, v54, v13
	s_and_b64 s[2:3], s[80:81], s[4:5]
	s_and_b64 s[50:51], s[2:3], vcc
	v_cmp_gt_i32_e64 s[2:3], s18, v13
	v_or_b32_e32 v25, v8, v15
	v_or_b32_e32 v26, v8, v19
	;; [unrolled: 1-line block ×4, first 2 shown]
	v_cmp_lt_i32_e64 s[4:5], -1, v8
	s_and_b64 s[84:85], s[6:7], s[2:3]
	s_and_b64 s[4:5], s[84:85], s[4:5]
	v_or_b32_e32 v27, v10, v15
	v_or_b32_e32 v28, v10, v19
	v_or_b32_e32 v10, v10, v5
	v_or_b32_e32 v12, v58, v13
	s_and_b64 s[52:53], s[4:5], vcc
	v_cmp_lt_i32_e64 s[4:5], -1, v10
	s_and_b64 s[86:87], s[8:9], s[2:3]
	s_and_b64 s[4:5], s[86:87], s[4:5]
	v_or_b32_e32 v29, v12, v15
	v_or_b32_e32 v30, v12, v19
	;; [unrolled: 1-line block ×3, first 2 shown]
	v_add_u32_e32 v3, -2, v7
	s_and_b64 s[54:55], s[4:5], vcc
	v_cmp_lt_i32_e64 s[4:5], -1, v12
	s_and_b64 s[82:83], s[10:11], s[2:3]
	v_or_b32_e32 v11, v54, v3
	s_and_b64 s[2:3], s[82:83], s[4:5]
	s_and_b64 s[56:57], s[2:3], vcc
	v_cmp_gt_i32_e64 s[2:3], s18, v3
	v_or_b32_e32 v33, v11, v15
	v_or_b32_e32 v32, v11, v19
	;; [unrolled: 1-line block ×4, first 2 shown]
	v_cmp_lt_i32_e64 s[4:5], -1, v11
	s_and_b64 s[88:89], s[6:7], s[2:3]
	s_and_b64 s[4:5], s[88:89], s[4:5]
	v_or_b32_e32 v11, v16, v15
	v_or_b32_e32 v34, v16, v19
	;; [unrolled: 1-line block ×4, first 2 shown]
	s_and_b64 s[6:7], s[4:5], vcc
	v_cmp_lt_i32_e64 s[4:5], -1, v16
	s_and_b64 s[90:91], s[8:9], s[2:3]
	s_and_b64 s[4:5], s[90:91], s[4:5]
	v_or_b32_e32 v5, v18, v5
	s_and_b64 s[8:9], s[4:5], vcc
	v_cmp_lt_i32_e64 s[4:5], -1, v5
	s_and_b64 s[92:93], s[10:11], s[2:3]
	s_and_b64 s[2:3], s[92:93], s[4:5]
	s_and_b64 s[10:11], s[2:3], vcc
	v_cmp_lt_i32_e64 s[2:3], -1, v20
	v_cmp_gt_i32_e32 vcc, s17, v19
	s_and_b64 s[2:3], s[76:77], s[2:3]
	s_and_b64 s[58:59], s[2:3], vcc
	v_cmp_lt_i32_e64 s[2:3], -1, v22
	s_and_b64 s[2:3], s[78:79], s[2:3]
	s_and_b64 s[60:61], s[2:3], vcc
	v_cmp_lt_i32_e64 s[2:3], -1, v24
	;; [unrolled: 3-line block ×6, first 2 shown]
	s_and_b64 s[2:3], s[88:89], s[2:3]
	v_or_b32_e32 v36, v18, v19
	s_and_b64 s[70:71], s[2:3], vcc
	v_cmp_lt_i32_e64 s[2:3], -1, v34
	v_add_u32_e32 v14, v13, v9
	v_cmp_lt_i32_e64 s[4:5], -1, v36
	s_and_b64 s[2:3], s[90:91], s[2:3]
	v_mul_lo_u32 v14, v14, s19
	v_subrev_u32_e32 v5, s18, v9
	s_and_b64 s[72:73], s[2:3], vcc
	s_and_b64 s[2:3], s[92:93], s[4:5]
	v_add_u32_e32 v8, v54, v14
	v_add_u32_e32 v10, v56, v14
	;; [unrolled: 1-line block ×5, first 2 shown]
	s_and_b64 s[74:75], s[2:3], vcc
	v_cmp_lt_i32_e64 s[2:3], -1, v17
	v_mul_lo_u32 v9, v9, s19
	s_and_b64 s[76:77], s[76:77], s[2:3]
	v_cmp_lt_i32_e64 s[2:3], -1, v21
	v_add_u32_e32 v20, v54, v9
	v_add_u32_e32 v22, v56, v9
	;; [unrolled: 1-line block ×4, first 2 shown]
	s_and_b64 s[78:79], s[78:79], s[2:3]
	v_cmp_lt_i32_e64 s[2:3], -1, v23
	v_mul_lo_u32 v9, v9, s19
	s_and_b64 s[80:81], s[80:81], s[2:3]
	v_cmp_lt_i32_e64 s[2:3], -1, v25
	v_add_u32_e32 v26, v54, v9
	v_add_u32_e32 v28, v56, v9
	;; [unrolled: 1-line block ×4, first 2 shown]
	s_and_b64 s[84:85], s[84:85], s[2:3]
	v_cmp_lt_i32_e64 s[2:3], -1, v27
	v_mul_lo_u32 v9, v9, s19
	v_subrev_u32_e32 v5, s18, v5
	s_and_b64 s[86:87], s[86:87], s[2:3]
	v_cmp_lt_i32_e64 s[2:3], -1, v29
	v_mul_lo_u32 v73, v71, s16
	s_waitcnt lgkmcnt(0)
	v_mul_lo_u32 v50, s38, v72
	v_or_b32_e32 v35, v18, v15
	v_add_u32_e32 v32, v54, v9
	v_add_u32_e32 v34, v56, v9
	;; [unrolled: 1-line block ×6, first 2 shown]
	s_and_b64 s[36:37], s[82:83], s[2:3]
	v_cmp_lt_i32_e64 s[2:3], -1, v33
	v_readlane_b32 s82, v127, 0
	v_mul_lo_u32 v48, s23, v73
	v_mul_lo_u32 v31, v14, s19
	v_cmp_gt_i32_e32 vcc, s17, v15
	v_mul_lo_u32 v7, v7, s19
	v_mul_lo_u32 v52, v9, s19
	s_and_b64 s[88:89], s[88:89], s[2:3]
	v_cmp_lt_i32_e64 s[2:3], -1, v11
	v_cmp_lt_i32_e64 s[4:5], -1, v35
	v_ashrrev_i32_e32 v51, 31, v50
	v_readlane_b32 s83, v127, 1
	v_mul_lo_u32 v59, v55, s19
	v_add_u32_e32 v2, v54, v6
	v_add_u32_e32 v4, v56, v6
	;; [unrolled: 1-line block ×11, first 2 shown]
	v_ashrrev_i32_e32 v49, 31, v48
	v_lshl_add_u64 v[50:51], v[50:51], 1, s[82:83]
	s_and_b64 s[82:83], s[84:85], vcc
	s_and_b64 s[84:85], s[86:87], vcc
	;; [unrolled: 1-line block ×3, first 2 shown]
	v_add_u32_e32 v52, v58, v52
	v_add_u32_e32 v54, v54, v59
	s_and_b64 s[2:3], s[90:91], s[2:3]
	v_add_u32_e32 v56, v56, v59
	s_and_b64 s[4:5], s[92:93], s[4:5]
	v_add_u32_e32 v58, v58, v59
	s_mul_i32 s36, s39, s16
	v_lshl_add_u64 v[48:49], v[48:49], 1, s[42:43]
	v_ashrrev_i32_e32 v3, 31, v2
	v_ashrrev_i32_e32 v5, 31, v4
	;; [unrolled: 1-line block ×18, first 2 shown]
	s_and_b64 s[76:77], s[76:77], vcc
	v_ashrrev_i32_e32 v39, 31, v38
	s_and_b64 s[78:79], s[78:79], vcc
	v_ashrrev_i32_e32 v41, 31, v40
	;; [unrolled: 2-line block ×3, first 2 shown]
	v_ashrrev_i32_e32 v45, 31, v44
	v_ashrrev_i32_e32 v47, 31, v46
	;; [unrolled: 1-line block ×3, first 2 shown]
	s_and_b64 s[88:89], s[88:89], vcc
	v_ashrrev_i32_e32 v55, 31, v54
	s_and_b64 s[2:3], s[2:3], vcc
	v_ashrrev_i32_e32 v57, 31, v56
	;; [unrolled: 2-line block ×3, first 2 shown]
	s_mov_b64 s[90:91], 0
	v_add_u32_e32 v75, s16, v73
	v_mov_b32_e32 v74, 0
	v_mul_lo_u32 v60, s36, v71
	s_branch .LBB27_7
.LBB27_6:                               ;   in Loop: Header=BB27_7 Depth=2
	s_or_b64 exec, exec, s[92:93]
	s_waitcnt vmcnt(26)
	v_lshlrev_b32_e32 v62, 16, v76
	v_fmac_f32_e32 v74, v61, v62
	s_waitcnt vmcnt(25)
	v_lshlrev_b32_e32 v61, 16, v78
	v_fmac_f32_e32 v74, v79, v61
	;; [unrolled: 3-line block ×25, first 2 shown]
	s_waitcnt vmcnt(1)
	v_lshlrev_b32_e32 v61, 16, v126
	v_add_u32_e32 v73, 1, v73
	v_fmac_f32_e32 v74, v64, v61
	s_waitcnt vmcnt(0)
	v_lshlrev_b32_e32 v61, 16, v65
	v_cmp_ge_i32_e32 vcc, v73, v75
	v_fmac_f32_e32 v74, v125, v61
	v_lshl_add_u64 v[48:49], v[48:49], 0, 54
	s_or_b64 s[90:91], vcc, s[90:91]
	v_add_u32_e32 v60, s39, v60
	s_andn2_b64 exec, exec, s[90:91]
	s_cbranch_execz .LBB27_2
.LBB27_7:                               ;   Parent Loop BB27_4 Depth=1
                                        ; =>  This Inner Loop Header: Depth=2
	global_load_ushort v76, v[48:49], off
	v_ashrrev_i32_e32 v61, 31, v60
	v_lshl_add_u64 v[62:63], v[60:61], 1, v[50:51]
	v_mov_b32_e32 v61, 0
	s_and_saveexec_b64 s[92:93], s[46:47]
	s_cbranch_execz .LBB27_9
; %bb.8:                                ;   in Loop: Header=BB27_7 Depth=2
	v_lshl_add_u64 v[64:65], v[2:3], 1, v[62:63]
	global_load_ushort v61, v[64:65], off
	s_waitcnt vmcnt(0)
	v_lshlrev_b32_e32 v61, 16, v61
.LBB27_9:                               ;   in Loop: Header=BB27_7 Depth=2
	s_or_b64 exec, exec, s[92:93]
	global_load_ushort v78, v[48:49], off offset:2
	v_mov_b32_e32 v77, 0
	v_mov_b32_e32 v79, 0
	s_and_saveexec_b64 s[92:93], s[48:49]
	s_cbranch_execz .LBB27_11
; %bb.10:                               ;   in Loop: Header=BB27_7 Depth=2
	v_lshl_add_u64 v[64:65], v[4:5], 1, v[62:63]
	global_load_ushort v64, v[64:65], off
	s_waitcnt vmcnt(0)
	v_lshlrev_b32_e32 v79, 16, v64
.LBB27_11:                              ;   in Loop: Header=BB27_7 Depth=2
	s_or_b64 exec, exec, s[92:93]
	global_load_ushort v80, v[48:49], off offset:4
	s_and_saveexec_b64 s[92:93], s[50:51]
	s_cbranch_execz .LBB27_13
; %bb.12:                               ;   in Loop: Header=BB27_7 Depth=2
	v_lshl_add_u64 v[64:65], v[6:7], 1, v[62:63]
	global_load_ushort v64, v[64:65], off
	s_waitcnt vmcnt(0)
	v_lshlrev_b32_e32 v77, 16, v64
.LBB27_13:                              ;   in Loop: Header=BB27_7 Depth=2
	s_or_b64 exec, exec, s[92:93]
	global_load_ushort v82, v[48:49], off offset:6
	v_mov_b32_e32 v81, 0
	v_mov_b32_e32 v83, 0
	s_and_saveexec_b64 s[92:93], s[52:53]
	s_cbranch_execz .LBB27_15
; %bb.14:                               ;   in Loop: Header=BB27_7 Depth=2
	v_lshl_add_u64 v[64:65], v[8:9], 1, v[62:63]
	global_load_ushort v64, v[64:65], off
	s_waitcnt vmcnt(0)
	v_lshlrev_b32_e32 v83, 16, v64
.LBB27_15:                              ;   in Loop: Header=BB27_7 Depth=2
	s_or_b64 exec, exec, s[92:93]
	global_load_ushort v84, v[48:49], off offset:8
	s_and_saveexec_b64 s[92:93], s[54:55]
	s_cbranch_execz .LBB27_17
; %bb.16:                               ;   in Loop: Header=BB27_7 Depth=2
	v_lshl_add_u64 v[64:65], v[10:11], 1, v[62:63]
	global_load_ushort v64, v[64:65], off
	s_waitcnt vmcnt(0)
	v_lshlrev_b32_e32 v81, 16, v64
.LBB27_17:                              ;   in Loop: Header=BB27_7 Depth=2
	;; [unrolled: 22-line block ×12, first 2 shown]
	s_or_b64 exec, exec, s[92:93]
	global_load_ushort v126, v[48:49], off offset:50
	v_mov_b32_e32 v125, 0
	v_mov_b32_e32 v64, 0
	s_and_saveexec_b64 s[92:93], s[2:3]
	s_cbranch_execz .LBB27_59
; %bb.58:                               ;   in Loop: Header=BB27_7 Depth=2
	v_lshl_add_u64 v[64:65], v[56:57], 1, v[62:63]
	global_load_ushort v64, v[64:65], off
	s_waitcnt vmcnt(0)
	v_lshlrev_b32_e32 v64, 16, v64
.LBB27_59:                              ;   in Loop: Header=BB27_7 Depth=2
	s_or_b64 exec, exec, s[92:93]
	global_load_ushort v65, v[48:49], off offset:52
	s_and_saveexec_b64 s[92:93], s[4:5]
	s_cbranch_execz .LBB27_6
; %bb.60:                               ;   in Loop: Header=BB27_7 Depth=2
	v_lshl_add_u64 v[62:63], v[58:59], 1, v[62:63]
	global_load_ushort v62, v[62:63], off
	s_waitcnt vmcnt(0)
	v_lshlrev_b32_e32 v125, 16, v62
	s_branch .LBB27_6
.LBB27_61:                              ;   in Loop: Header=BB27_4 Depth=1
	v_mov_b32_e32 v74, 0
	s_branch .LBB27_3
.LBB27_62:
	s_endpgm
	.section	.rodata,"a",@progbits
	.p2align	6, 0x0
	.amdhsa_kernel _ZN2at6native12_GLOBAL__N_143conv_depthwise3d_cuda_backward_input_kernelIN3c108BFloat16EfLi3ELi3ELi3ELi1ELi1ELi1ELi1ELi1ELi1EEEvN5torch10headeronly6detail27GenericPackedTensorAccessorINS7_14TensorAccessorINS3_8ArrayRefIlEEKT_Lm4ENS6_16DefaultPtrTraitsEiEENS_6detail16IndexBoundsCheckILm5EiEESD_Lm5ESE_iEENS8_INS9_ISB_SC_Lm4ESE_iEESI_SC_Lm5ESE_iEESJ_iiiiiiiii
		.amdhsa_group_segment_fixed_size 0
		.amdhsa_private_segment_fixed_size 12
		.amdhsa_kernarg_size 440
		.amdhsa_user_sgpr_count 2
		.amdhsa_user_sgpr_dispatch_ptr 0
		.amdhsa_user_sgpr_queue_ptr 0
		.amdhsa_user_sgpr_kernarg_segment_ptr 1
		.amdhsa_user_sgpr_dispatch_id 0
		.amdhsa_user_sgpr_kernarg_preload_length 0
		.amdhsa_user_sgpr_kernarg_preload_offset 0
		.amdhsa_user_sgpr_private_segment_size 0
		.amdhsa_uses_dynamic_stack 0
		.amdhsa_enable_private_segment 1
		.amdhsa_system_sgpr_workgroup_id_x 1
		.amdhsa_system_sgpr_workgroup_id_y 0
		.amdhsa_system_sgpr_workgroup_id_z 0
		.amdhsa_system_sgpr_workgroup_info 0
		.amdhsa_system_vgpr_workitem_id 0
		.amdhsa_next_free_vgpr 128
		.amdhsa_next_free_sgpr 100
		.amdhsa_accum_offset 128
		.amdhsa_reserve_vcc 1
		.amdhsa_float_round_mode_32 0
		.amdhsa_float_round_mode_16_64 0
		.amdhsa_float_denorm_mode_32 3
		.amdhsa_float_denorm_mode_16_64 3
		.amdhsa_dx10_clamp 1
		.amdhsa_ieee_mode 1
		.amdhsa_fp16_overflow 0
		.amdhsa_tg_split 0
		.amdhsa_exception_fp_ieee_invalid_op 0
		.amdhsa_exception_fp_denorm_src 0
		.amdhsa_exception_fp_ieee_div_zero 0
		.amdhsa_exception_fp_ieee_overflow 0
		.amdhsa_exception_fp_ieee_underflow 0
		.amdhsa_exception_fp_ieee_inexact 0
		.amdhsa_exception_int_div_zero 0
	.end_amdhsa_kernel
	.section	.text._ZN2at6native12_GLOBAL__N_143conv_depthwise3d_cuda_backward_input_kernelIN3c108BFloat16EfLi3ELi3ELi3ELi1ELi1ELi1ELi1ELi1ELi1EEEvN5torch10headeronly6detail27GenericPackedTensorAccessorINS7_14TensorAccessorINS3_8ArrayRefIlEEKT_Lm4ENS6_16DefaultPtrTraitsEiEENS_6detail16IndexBoundsCheckILm5EiEESD_Lm5ESE_iEENS8_INS9_ISB_SC_Lm4ESE_iEESI_SC_Lm5ESE_iEESJ_iiiiiiiii,"axG",@progbits,_ZN2at6native12_GLOBAL__N_143conv_depthwise3d_cuda_backward_input_kernelIN3c108BFloat16EfLi3ELi3ELi3ELi1ELi1ELi1ELi1ELi1ELi1EEEvN5torch10headeronly6detail27GenericPackedTensorAccessorINS7_14TensorAccessorINS3_8ArrayRefIlEEKT_Lm4ENS6_16DefaultPtrTraitsEiEENS_6detail16IndexBoundsCheckILm5EiEESD_Lm5ESE_iEENS8_INS9_ISB_SC_Lm4ESE_iEESI_SC_Lm5ESE_iEESJ_iiiiiiiii,comdat
.Lfunc_end27:
	.size	_ZN2at6native12_GLOBAL__N_143conv_depthwise3d_cuda_backward_input_kernelIN3c108BFloat16EfLi3ELi3ELi3ELi1ELi1ELi1ELi1ELi1ELi1EEEvN5torch10headeronly6detail27GenericPackedTensorAccessorINS7_14TensorAccessorINS3_8ArrayRefIlEEKT_Lm4ENS6_16DefaultPtrTraitsEiEENS_6detail16IndexBoundsCheckILm5EiEESD_Lm5ESE_iEENS8_INS9_ISB_SC_Lm4ESE_iEESI_SC_Lm5ESE_iEESJ_iiiiiiiii, .Lfunc_end27-_ZN2at6native12_GLOBAL__N_143conv_depthwise3d_cuda_backward_input_kernelIN3c108BFloat16EfLi3ELi3ELi3ELi1ELi1ELi1ELi1ELi1ELi1EEEvN5torch10headeronly6detail27GenericPackedTensorAccessorINS7_14TensorAccessorINS3_8ArrayRefIlEEKT_Lm4ENS6_16DefaultPtrTraitsEiEENS_6detail16IndexBoundsCheckILm5EiEESD_Lm5ESE_iEENS8_INS9_ISB_SC_Lm4ESE_iEESI_SC_Lm5ESE_iEESJ_iiiiiiiii
                                        ; -- End function
	.set _ZN2at6native12_GLOBAL__N_143conv_depthwise3d_cuda_backward_input_kernelIN3c108BFloat16EfLi3ELi3ELi3ELi1ELi1ELi1ELi1ELi1ELi1EEEvN5torch10headeronly6detail27GenericPackedTensorAccessorINS7_14TensorAccessorINS3_8ArrayRefIlEEKT_Lm4ENS6_16DefaultPtrTraitsEiEENS_6detail16IndexBoundsCheckILm5EiEESD_Lm5ESE_iEENS8_INS9_ISB_SC_Lm4ESE_iEESI_SC_Lm5ESE_iEESJ_iiiiiiiii.num_vgpr, 128
	.set _ZN2at6native12_GLOBAL__N_143conv_depthwise3d_cuda_backward_input_kernelIN3c108BFloat16EfLi3ELi3ELi3ELi1ELi1ELi1ELi1ELi1ELi1EEEvN5torch10headeronly6detail27GenericPackedTensorAccessorINS7_14TensorAccessorINS3_8ArrayRefIlEEKT_Lm4ENS6_16DefaultPtrTraitsEiEENS_6detail16IndexBoundsCheckILm5EiEESD_Lm5ESE_iEENS8_INS9_ISB_SC_Lm4ESE_iEESI_SC_Lm5ESE_iEESJ_iiiiiiiii.num_agpr, 0
	.set _ZN2at6native12_GLOBAL__N_143conv_depthwise3d_cuda_backward_input_kernelIN3c108BFloat16EfLi3ELi3ELi3ELi1ELi1ELi1ELi1ELi1ELi1EEEvN5torch10headeronly6detail27GenericPackedTensorAccessorINS7_14TensorAccessorINS3_8ArrayRefIlEEKT_Lm4ENS6_16DefaultPtrTraitsEiEENS_6detail16IndexBoundsCheckILm5EiEESD_Lm5ESE_iEENS8_INS9_ISB_SC_Lm4ESE_iEESI_SC_Lm5ESE_iEESJ_iiiiiiiii.numbered_sgpr, 100
	.set _ZN2at6native12_GLOBAL__N_143conv_depthwise3d_cuda_backward_input_kernelIN3c108BFloat16EfLi3ELi3ELi3ELi1ELi1ELi1ELi1ELi1ELi1EEEvN5torch10headeronly6detail27GenericPackedTensorAccessorINS7_14TensorAccessorINS3_8ArrayRefIlEEKT_Lm4ENS6_16DefaultPtrTraitsEiEENS_6detail16IndexBoundsCheckILm5EiEESD_Lm5ESE_iEENS8_INS9_ISB_SC_Lm4ESE_iEESI_SC_Lm5ESE_iEESJ_iiiiiiiii.num_named_barrier, 0
	.set _ZN2at6native12_GLOBAL__N_143conv_depthwise3d_cuda_backward_input_kernelIN3c108BFloat16EfLi3ELi3ELi3ELi1ELi1ELi1ELi1ELi1ELi1EEEvN5torch10headeronly6detail27GenericPackedTensorAccessorINS7_14TensorAccessorINS3_8ArrayRefIlEEKT_Lm4ENS6_16DefaultPtrTraitsEiEENS_6detail16IndexBoundsCheckILm5EiEESD_Lm5ESE_iEENS8_INS9_ISB_SC_Lm4ESE_iEESI_SC_Lm5ESE_iEESJ_iiiiiiiii.private_seg_size, 12
	.set _ZN2at6native12_GLOBAL__N_143conv_depthwise3d_cuda_backward_input_kernelIN3c108BFloat16EfLi3ELi3ELi3ELi1ELi1ELi1ELi1ELi1ELi1EEEvN5torch10headeronly6detail27GenericPackedTensorAccessorINS7_14TensorAccessorINS3_8ArrayRefIlEEKT_Lm4ENS6_16DefaultPtrTraitsEiEENS_6detail16IndexBoundsCheckILm5EiEESD_Lm5ESE_iEENS8_INS9_ISB_SC_Lm4ESE_iEESI_SC_Lm5ESE_iEESJ_iiiiiiiii.uses_vcc, 1
	.set _ZN2at6native12_GLOBAL__N_143conv_depthwise3d_cuda_backward_input_kernelIN3c108BFloat16EfLi3ELi3ELi3ELi1ELi1ELi1ELi1ELi1ELi1EEEvN5torch10headeronly6detail27GenericPackedTensorAccessorINS7_14TensorAccessorINS3_8ArrayRefIlEEKT_Lm4ENS6_16DefaultPtrTraitsEiEENS_6detail16IndexBoundsCheckILm5EiEESD_Lm5ESE_iEENS8_INS9_ISB_SC_Lm4ESE_iEESI_SC_Lm5ESE_iEESJ_iiiiiiiii.uses_flat_scratch, 0
	.set _ZN2at6native12_GLOBAL__N_143conv_depthwise3d_cuda_backward_input_kernelIN3c108BFloat16EfLi3ELi3ELi3ELi1ELi1ELi1ELi1ELi1ELi1EEEvN5torch10headeronly6detail27GenericPackedTensorAccessorINS7_14TensorAccessorINS3_8ArrayRefIlEEKT_Lm4ENS6_16DefaultPtrTraitsEiEENS_6detail16IndexBoundsCheckILm5EiEESD_Lm5ESE_iEENS8_INS9_ISB_SC_Lm4ESE_iEESI_SC_Lm5ESE_iEESJ_iiiiiiiii.has_dyn_sized_stack, 0
	.set _ZN2at6native12_GLOBAL__N_143conv_depthwise3d_cuda_backward_input_kernelIN3c108BFloat16EfLi3ELi3ELi3ELi1ELi1ELi1ELi1ELi1ELi1EEEvN5torch10headeronly6detail27GenericPackedTensorAccessorINS7_14TensorAccessorINS3_8ArrayRefIlEEKT_Lm4ENS6_16DefaultPtrTraitsEiEENS_6detail16IndexBoundsCheckILm5EiEESD_Lm5ESE_iEENS8_INS9_ISB_SC_Lm4ESE_iEESI_SC_Lm5ESE_iEESJ_iiiiiiiii.has_recursion, 0
	.set _ZN2at6native12_GLOBAL__N_143conv_depthwise3d_cuda_backward_input_kernelIN3c108BFloat16EfLi3ELi3ELi3ELi1ELi1ELi1ELi1ELi1ELi1EEEvN5torch10headeronly6detail27GenericPackedTensorAccessorINS7_14TensorAccessorINS3_8ArrayRefIlEEKT_Lm4ENS6_16DefaultPtrTraitsEiEENS_6detail16IndexBoundsCheckILm5EiEESD_Lm5ESE_iEENS8_INS9_ISB_SC_Lm4ESE_iEESI_SC_Lm5ESE_iEESJ_iiiiiiiii.has_indirect_call, 0
	.section	.AMDGPU.csdata,"",@progbits
; Kernel info:
; codeLenInByte = 3936
; TotalNumSgprs: 106
; NumVgprs: 128
; NumAgprs: 0
; TotalNumVgprs: 128
; ScratchSize: 12
; MemoryBound: 0
; FloatMode: 240
; IeeeMode: 1
; LDSByteSize: 0 bytes/workgroup (compile time only)
; SGPRBlocks: 13
; VGPRBlocks: 15
; NumSGPRsForWavesPerEU: 106
; NumVGPRsForWavesPerEU: 128
; AccumOffset: 128
; Occupancy: 4
; WaveLimiterHint : 0
; COMPUTE_PGM_RSRC2:SCRATCH_EN: 1
; COMPUTE_PGM_RSRC2:USER_SGPR: 2
; COMPUTE_PGM_RSRC2:TRAP_HANDLER: 0
; COMPUTE_PGM_RSRC2:TGID_X_EN: 1
; COMPUTE_PGM_RSRC2:TGID_Y_EN: 0
; COMPUTE_PGM_RSRC2:TGID_Z_EN: 0
; COMPUTE_PGM_RSRC2:TIDIG_COMP_CNT: 0
; COMPUTE_PGM_RSRC3_GFX90A:ACCUM_OFFSET: 31
; COMPUTE_PGM_RSRC3_GFX90A:TG_SPLIT: 0
	.section	.text._ZN2at6native12_GLOBAL__N_143conv_depthwise3d_cuda_backward_input_kernelIN3c108BFloat16EfLi3ELi3ELi3ELi1ELi1ELi1ELin1ELin1ELin1EEEvN5torch10headeronly6detail27GenericPackedTensorAccessorINS7_14TensorAccessorINS3_8ArrayRefIlEEKT_Lm4ENS6_16DefaultPtrTraitsEiEENS_6detail16IndexBoundsCheckILm5EiEESD_Lm5ESE_iEENS8_INS9_ISB_SC_Lm4ESE_iEESI_SC_Lm5ESE_iEESJ_iiiiiiiii,"axG",@progbits,_ZN2at6native12_GLOBAL__N_143conv_depthwise3d_cuda_backward_input_kernelIN3c108BFloat16EfLi3ELi3ELi3ELi1ELi1ELi1ELin1ELin1ELin1EEEvN5torch10headeronly6detail27GenericPackedTensorAccessorINS7_14TensorAccessorINS3_8ArrayRefIlEEKT_Lm4ENS6_16DefaultPtrTraitsEiEENS_6detail16IndexBoundsCheckILm5EiEESD_Lm5ESE_iEENS8_INS9_ISB_SC_Lm4ESE_iEESI_SC_Lm5ESE_iEESJ_iiiiiiiii,comdat
	.globl	_ZN2at6native12_GLOBAL__N_143conv_depthwise3d_cuda_backward_input_kernelIN3c108BFloat16EfLi3ELi3ELi3ELi1ELi1ELi1ELin1ELin1ELin1EEEvN5torch10headeronly6detail27GenericPackedTensorAccessorINS7_14TensorAccessorINS3_8ArrayRefIlEEKT_Lm4ENS6_16DefaultPtrTraitsEiEENS_6detail16IndexBoundsCheckILm5EiEESD_Lm5ESE_iEENS8_INS9_ISB_SC_Lm4ESE_iEESI_SC_Lm5ESE_iEESJ_iiiiiiiii ; -- Begin function _ZN2at6native12_GLOBAL__N_143conv_depthwise3d_cuda_backward_input_kernelIN3c108BFloat16EfLi3ELi3ELi3ELi1ELi1ELi1ELin1ELin1ELin1EEEvN5torch10headeronly6detail27GenericPackedTensorAccessorINS7_14TensorAccessorINS3_8ArrayRefIlEEKT_Lm4ENS6_16DefaultPtrTraitsEiEENS_6detail16IndexBoundsCheckILm5EiEESD_Lm5ESE_iEENS8_INS9_ISB_SC_Lm4ESE_iEESI_SC_Lm5ESE_iEESJ_iiiiiiiii
	.p2align	8
	.type	_ZN2at6native12_GLOBAL__N_143conv_depthwise3d_cuda_backward_input_kernelIN3c108BFloat16EfLi3ELi3ELi3ELi1ELi1ELi1ELin1ELin1ELin1EEEvN5torch10headeronly6detail27GenericPackedTensorAccessorINS7_14TensorAccessorINS3_8ArrayRefIlEEKT_Lm4ENS6_16DefaultPtrTraitsEiEENS_6detail16IndexBoundsCheckILm5EiEESD_Lm5ESE_iEENS8_INS9_ISB_SC_Lm4ESE_iEESI_SC_Lm5ESE_iEESJ_iiiiiiiii,@function
_ZN2at6native12_GLOBAL__N_143conv_depthwise3d_cuda_backward_input_kernelIN3c108BFloat16EfLi3ELi3ELi3ELi1ELi1ELi1ELin1ELin1ELin1EEEvN5torch10headeronly6detail27GenericPackedTensorAccessorINS7_14TensorAccessorINS3_8ArrayRefIlEEKT_Lm4ENS6_16DefaultPtrTraitsEiEENS_6detail16IndexBoundsCheckILm5EiEESD_Lm5ESE_iEENS8_INS9_ISB_SC_Lm4ESE_iEESI_SC_Lm5ESE_iEESJ_iiiiiiiii: ; @_ZN2at6native12_GLOBAL__N_143conv_depthwise3d_cuda_backward_input_kernelIN3c108BFloat16EfLi3ELi3ELi3ELi1ELi1ELi1ELin1ELin1ELin1EEEvN5torch10headeronly6detail27GenericPackedTensorAccessorINS7_14TensorAccessorINS3_8ArrayRefIlEEKT_Lm4ENS6_16DefaultPtrTraitsEiEENS_6detail16IndexBoundsCheckILm5EiEESD_Lm5ESE_iEENS8_INS9_ISB_SC_Lm4ESE_iEESI_SC_Lm5ESE_iEESJ_iiiiiiiii
; %bb.0:
	s_load_dwordx4 s[8:11], s[0:1], 0x38
	s_load_dwordx2 s[16:17], s[0:1], 0x48
	s_load_dword s4, s[0:1], 0xc4
                                        ; implicit-def: $vgpr126 : SGPR spill to VGPR lane
	v_mov_b32_e32 v3, s2
	v_mov_b32_e32 v1, 0
	s_waitcnt lgkmcnt(0)
	s_abs_i32 s3, s9
	v_cvt_f32_u32_e32 v2, s3
	v_writelane_b32 v126, s3, 0
	s_mov_b64 s[6:7], s[10:11]
	s_mov_b32 s5, s9
	v_rcp_iflag_f32_e32 v2, v2
	v_writelane_b32 v126, s4, 1
	s_mul_i32 s8, s17, s8
	s_add_u32 s2, s0, 0xb8
	v_mul_f32_e32 v2, 0x4f7ffffe, v2
	v_writelane_b32 v126, s5, 2
	v_cvt_u32_f32_e32 v2, v2
	v_writelane_b32 v126, s6, 3
	v_writelane_b32 v126, s7, 4
	s_addc_u32 s3, s1, 0
	s_and_b32 s4, s4, 0xffff
	s_ashr_i32 s9, s8, 31
	v_mad_u64_u32 v[0:1], s[6:7], s4, v3, v[0:1]
	v_writelane_b32 v126, s8, 5
	v_readfirstlane_b32 s5, v2
	s_nop 0
	v_writelane_b32 v126, s9, 6
	v_cmp_gt_i64_e32 vcc, s[8:9], v[0:1]
	s_and_saveexec_b64 s[6:7], vcc
	s_cbranch_execz .LBB28_63
; %bb.1:
	s_load_dwordx2 s[6:7], s[0:1], 0x0
	s_load_dwordx4 s[24:27], s[0:1], 0x50
	s_load_dwordx4 s[8:11], s[0:1], 0xc
	;; [unrolled: 1-line block ×3, first 2 shown]
	s_load_dwordx2 s[18:19], s[0:1], 0xa0
                                        ; kill: killed $sgpr0 killed $sgpr1
	s_waitcnt lgkmcnt(0)
	v_writelane_b32 v126, s6, 7
	s_ashr_i32 s12, s13, 31
	s_nop 0
	v_writelane_b32 v126, s7, 8
	s_ashr_i32 s6, s8, 31
	v_writelane_b32 v126, s8, 9
	s_abs_i32 s7, s8
	s_xor_b32 s6, s6, s12
	v_writelane_b32 v126, s9, 10
	v_writelane_b32 v126, s10, 11
	;; [unrolled: 1-line block ×3, first 2 shown]
	s_mov_b32 s13, 0
	v_readlane_b32 s11, v126, 0
	s_sub_i32 s8, 0, s11
	s_mul_i32 s9, s8, s5
	s_mul_hi_u32 s9, s5, s9
	s_add_i32 s5, s5, s9
	s_mul_hi_u32 s5, s7, s5
	s_mul_i32 s9, s5, s11
	s_sub_i32 s7, s7, s9
	s_add_i32 s9, s5, 1
	s_sub_i32 s10, s7, s11
	s_cmp_ge_u32 s7, s11
	s_cselect_b32 s5, s9, s5
	s_cselect_b32 s7, s10, s7
	s_add_i32 s9, s5, 1
	s_cmp_ge_u32 s7, s11
	s_cselect_b32 s5, s9, s5
	s_xor_b32 s5, s5, s6
	s_sub_i32 s6, s5, s6
	s_load_dword s5, s[2:3], 0x0
	s_load_dwordx4 s[20:23], s[0:1], 0x90
	s_load_dword s7, s[0:1], 0x7c
	s_load_dwordx2 s[10:11], s[0:1], 0x1c
	v_writelane_b32 v126, s18, 13
	s_cmp_gt_i32 s6, 0
	s_cselect_b64 s[2:3], -1, 0
	v_writelane_b32 v126, s19, 14
	v_writelane_b32 v126, s12, 15
	;; [unrolled: 1-line block ×3, first 2 shown]
	s_waitcnt lgkmcnt(0)
	v_writelane_b32 v126, s7, 17
	v_writelane_b32 v126, s10, 18
	s_abs_i32 s6, s16
	v_cvt_f32_u32_e32 v3, s6
	v_writelane_b32 v126, s11, 19
	s_load_dwordx2 s[10:11], s[0:1], 0x30
	s_mul_i32 s12, s5, s4
	v_rcp_iflag_f32_e32 v3, v3
	s_abs_i32 s4, s14
	s_abs_i32 s33, s22
	s_waitcnt lgkmcnt(0)
	v_writelane_b32 v126, s10, 20
	v_mul_f32_e32 v3, 0x4f7ffffe, v3
	v_cvt_u32_f32_e32 v3, v3
	v_writelane_b32 v126, s11, 21
	s_load_dwordx2 s[10:11], s[0:1], 0x60
	s_ashr_i32 s0, s16, 31
	s_abs_i32 s1, s15
	v_cvt_f32_u32_e32 v4, s1
	s_waitcnt lgkmcnt(0)
	v_writelane_b32 v126, s10, 22
	v_rcp_iflag_f32_e32 v4, v4
	s_nop 0
	v_writelane_b32 v126, s11, 23
	v_writelane_b32 v126, s24, 24
	v_mul_f32_e32 v4, 0x4f7ffffe, v4
	s_nop 0
	v_writelane_b32 v126, s25, 25
	v_writelane_b32 v126, s26, 26
	;; [unrolled: 1-line block ×4, first 2 shown]
	v_cvt_u32_f32_e32 v4, v4
	s_nop 0
	v_writelane_b32 v126, s13, 29
	v_writelane_b32 v126, s0, 30
	s_sub_i32 s0, 0, s6
	v_mul_lo_u32 v5, s0, v3
	v_mul_hi_u32 v5, v3, v5
	v_add_u32_e32 v3, v3, v5
	scratch_store_dword off, v3, off        ; 4-byte Folded Spill
	v_cvt_f32_u32_e32 v3, s4
	v_writelane_b32 v126, s6, 31
	s_ashr_i32 s0, s15, 31
	v_writelane_b32 v126, s0, 32
	v_rcp_iflag_f32_e32 v3, v3
	s_sub_i32 s0, 0, s1
	v_mul_lo_u32 v5, s0, v4
	v_writelane_b32 v126, s1, 33
	v_mul_f32_e32 v3, 0x4f7ffffe, v3
	v_cvt_u32_f32_e32 v3, v3
	v_mul_hi_u32 v5, v4, v5
	s_ashr_i32 s0, s14, 31
	v_add_u32_e32 v4, v4, v5
	v_writelane_b32 v126, s0, 34
	s_sub_i32 s0, 0, s4
	scratch_store_dword off, v4, off offset:4 ; 4-byte Folded Spill
	v_mul_lo_u32 v4, s0, v3
	s_abs_i32 s0, s20
	v_cvt_f32_u32_e32 v5, s0
	v_mul_hi_u32 v4, v3, v4
	v_add_u32_e32 v3, v3, v4
	scratch_store_dword off, v3, off offset:8 ; 4-byte Folded Spill
	v_rcp_iflag_f32_e32 v4, v5
	v_mul_lo_u32 v3, s8, v2
	v_mul_hi_u32 v3, v2, v3
	v_add_u32_e32 v2, v2, v3
	scratch_store_dword off, v2, off offset:12 ; 4-byte Folded Spill
	v_mul_f32_e32 v2, 0x4f7ffffe, v4
	v_cvt_u32_f32_e32 v2, v2
	v_writelane_b32 v126, s4, 35
	s_ashr_i32 s1, s20, 31
	v_writelane_b32 v126, s1, 36
	s_abs_i32 s1, s21
	v_writelane_b32 v126, s0, 37
	s_sub_i32 s0, 0, s0
	v_cvt_f32_u32_e32 v3, s1
	v_mul_lo_u32 v4, s0, v2
	v_mul_hi_u32 v4, v2, v4
	v_add_u32_e32 v2, v2, v4
	scratch_store_dword off, v2, off offset:16 ; 4-byte Folded Spill
	v_cvt_f32_u32_e32 v2, s33
	v_rcp_iflag_f32_e32 v3, v3
	s_ashr_i32 s0, s21, 31
	v_writelane_b32 v126, s0, 38
	v_rcp_iflag_f32_e32 v2, v2
	v_mul_f32_e32 v3, 0x4f7ffffe, v3
	v_cvt_u32_f32_e32 v3, v3
	v_writelane_b32 v126, s1, 39
	v_mul_f32_e32 v2, 0x4f7ffffe, v2
	v_writelane_b32 v126, s20, 40
	s_sub_i32 s0, 0, s1
	v_cvt_u32_f32_e32 v2, v2
	v_writelane_b32 v126, s21, 41
	v_mul_lo_u32 v4, s0, v3
	v_writelane_b32 v126, s22, 42
	v_mul_hi_u32 v4, v3, v4
	v_writelane_b32 v126, s23, 43
	s_ashr_i32 s0, s22, 31
	v_add_u32_e32 v3, v3, v4
	v_writelane_b32 v126, s0, 44
	s_sub_i32 s0, 0, s33
	scratch_store_dword off, v3, off offset:20 ; 4-byte Folded Spill
	v_mul_lo_u32 v3, s0, v2
	v_mul_hi_u32 v3, v2, v3
	v_add_u32_e32 v70, v2, v3
	v_cndmask_b32_e64 v2, 0, 1, s[2:3]
	v_cmp_ne_u32_e64 s[0:1], 1, v2
	s_mov_b64 s[4:5], 0
	s_nop 0
	v_writelane_b32 v126, s0, 45
	s_nop 1
	v_writelane_b32 v126, s1, 46
	v_writelane_b32 v126, s16, 47
	s_nop 1
	v_writelane_b32 v126, s17, 48
.LBB28_2:                               ; =>This Loop Header: Depth=1
                                        ;     Child Loop BB28_5 Depth 2
	scratch_load_dword v4, off, off         ; 4-byte Folded Reload
	v_writelane_b32 v126, s4, 49
	v_sub_u32_e32 v3, 0, v0
	v_ashrrev_i32_e32 v2, 31, v0
	v_writelane_b32 v126, s5, 50
	v_max_i32_e32 v3, v0, v3
	v_readlane_b32 s0, v126, 30
	s_waitcnt vmcnt(0)
	v_mul_hi_u32 v4, v3, v4
	v_xor_b32_e32 v2, s0, v2
	v_readlane_b32 s0, v126, 31
	s_nop 1
	v_mul_lo_u32 v5, v4, s0
	v_sub_u32_e32 v3, v3, v5
	v_add_u32_e32 v5, 1, v4
	v_cmp_le_u32_e32 vcc, s0, v3
	s_nop 1
	v_cndmask_b32_e32 v4, v4, v5, vcc
	v_subrev_u32_e32 v5, s0, v3
	v_cndmask_b32_e32 v3, v3, v5, vcc
	v_add_u32_e32 v5, 1, v4
	v_cmp_le_u32_e32 vcc, s0, v3
	v_readlane_b32 s0, v126, 32
	s_nop 0
	v_cndmask_b32_e32 v3, v4, v5, vcc
	scratch_load_dword v5, off, off offset:4 ; 4-byte Folded Reload
	v_xor_b32_e32 v3, v3, v2
	v_sub_u32_e32 v2, v3, v2
	v_mul_lo_u32 v3, v2, s16
	v_sub_u32_e32 v4, 0, v2
	v_sub_u32_e32 v71, v0, v3
	v_ashrrev_i32_e32 v3, 31, v2
	v_max_i32_e32 v4, v2, v4
	v_xor_b32_e32 v3, s0, v3
	v_readlane_b32 s0, v126, 33
	s_waitcnt vmcnt(0)
	v_mul_hi_u32 v5, v4, v5
	v_mul_lo_u32 v6, v5, s0
	v_sub_u32_e32 v4, v4, v6
	v_add_u32_e32 v6, 1, v5
	v_cmp_le_u32_e32 vcc, s0, v4
	s_nop 1
	v_cndmask_b32_e32 v5, v5, v6, vcc
	v_subrev_u32_e32 v6, s0, v4
	v_cndmask_b32_e32 v4, v4, v6, vcc
	v_add_u32_e32 v6, 1, v5
	v_cmp_le_u32_e32 vcc, s0, v4
	v_readlane_b32 s0, v126, 1
	v_readlane_b32 s3, v126, 4
	v_cndmask_b32_e32 v4, v5, v6, vcc
	scratch_load_dword v5, off, off offset:8 ; 4-byte Folded Reload
	v_xor_b32_e32 v4, v4, v3
	v_sub_u32_e32 v3, v4, v3
	v_mul_lo_u32 v4, v3, s3
	v_sub_u32_e32 v72, v2, v4
	v_sub_u32_e32 v4, 0, v3
	v_ashrrev_i32_e32 v2, 31, v3
	v_readlane_b32 s0, v126, 34
	v_max_i32_e32 v4, v3, v4
	v_readlane_b32 s2, v126, 3
	v_xor_b32_e32 v2, s0, v2
	v_readlane_b32 s0, v126, 35
	v_readlane_b32 s1, v126, 2
	s_waitcnt vmcnt(0)
	v_mul_hi_u32 v5, v4, v5
	v_mul_lo_u32 v6, v5, s0
	v_sub_u32_e32 v4, v4, v6
	v_add_u32_e32 v6, 1, v5
	v_cmp_le_u32_e32 vcc, s0, v4
	s_nop 1
	v_cndmask_b32_e32 v5, v5, v6, vcc
	v_subrev_u32_e32 v6, s0, v4
	v_cndmask_b32_e32 v4, v4, v6, vcc
	v_add_u32_e32 v6, 1, v5
	v_cmp_le_u32_e32 vcc, s0, v4
	v_readlane_b32 s0, v126, 15
	s_nop 0
	v_cndmask_b32_e32 v4, v5, v6, vcc
	scratch_load_dword v5, off, off offset:12 ; 4-byte Folded Reload
	v_xor_b32_e32 v4, v4, v2
	v_sub_u32_e32 v2, v4, v2
	v_mul_lo_u32 v4, v2, s2
	v_sub_u32_e32 v73, v3, v4
	v_sub_u32_e32 v4, 0, v2
	v_ashrrev_i32_e32 v3, 31, v2
	v_max_i32_e32 v4, v2, v4
	v_xor_b32_e32 v3, s0, v3
	v_readlane_b32 s0, v126, 0
	s_waitcnt vmcnt(0)
	v_mul_hi_u32 v5, v4, v5
	v_mul_lo_u32 v6, v5, s0
	v_sub_u32_e32 v4, v4, v6
	v_add_u32_e32 v6, 1, v5
	v_cmp_le_u32_e32 vcc, s0, v4
	s_nop 1
	v_cndmask_b32_e32 v5, v5, v6, vcc
	v_subrev_u32_e32 v6, s0, v4
	v_cndmask_b32_e32 v4, v4, v6, vcc
	v_add_u32_e32 v6, 1, v5
	v_cmp_le_u32_e32 vcc, s0, v4
	s_nop 1
	v_cndmask_b32_e32 v4, v5, v6, vcc
	v_xor_b32_e32 v4, v4, v3
	v_sub_u32_e32 v75, v4, v3
	v_mul_lo_u32 v3, v75, s1
	v_readlane_b32 s0, v126, 45
	v_readlane_b32 s1, v126, 46
	s_and_b64 vcc, exec, s[0:1]
	v_sub_u32_e32 v74, v2, v3
	s_cbranch_vccnz .LBB28_60
; %bb.3:                                ;   in Loop: Header=BB28_2 Depth=1
	scratch_load_dword v15, off, off offset:16 ; 4-byte Folded Reload
	scratch_load_dword v12, off, off offset:20 ; 4-byte Folded Reload
	v_readlane_b32 s44, v126, 40
	v_readlane_b32 s47, v126, 43
	;; [unrolled: 1-line block ×4, first 2 shown]
	v_add_u32_e32 v4, s47, v73
	v_sub_u32_e32 v6, 0, v4
	v_max_i32_e32 v6, v4, v6
	v_add_u32_e32 v5, s0, v72
	v_readlane_b32 s0, v126, 37
	v_ashrrev_i32_e32 v3, 31, v4
	v_xor_b32_e32 v3, s26, v3
	v_readlane_b32 s1, v126, 14
	v_readlane_b32 s6, v126, 38
	;; [unrolled: 1-line block ×3, first 2 shown]
	v_add_u32_e32 v2, s1, v71
	v_readlane_b32 s1, v126, 39
	v_readlane_b32 s84, v126, 9
	;; [unrolled: 1-line block ×4, first 2 shown]
	v_sub_u32_e32 v23, 2, v2
	v_readlane_b32 s85, v126, 10
	v_readlane_b32 s45, v126, 41
	;; [unrolled: 1-line block ×3, first 2 shown]
                                        ; implicit-def: $vgpr127 : SGPR spill to VGPR lane
	v_mov_b32_e32 v78, 0
	s_waitcnt vmcnt(1)
	v_mul_hi_u32 v7, v6, v15
	v_mul_lo_u32 v8, v7, s0
	v_sub_u32_e32 v6, v6, v8
	v_add_u32_e32 v8, 1, v7
	v_cmp_le_u32_e32 vcc, s0, v6
	s_nop 1
	v_cndmask_b32_e32 v7, v7, v8, vcc
	v_subrev_u32_e32 v8, s0, v6
	v_cndmask_b32_e32 v6, v6, v8, vcc
	v_add_u32_e32 v8, 1, v7
	v_cmp_le_u32_e32 vcc, s0, v6
	s_nop 1
	v_cndmask_b32_e32 v6, v7, v8, vcc
	v_xor_b32_e32 v6, v6, v3
	v_sub_u32_e32 v8, v6, v3
	v_sub_u32_e32 v6, 0, v5
	v_max_i32_e32 v6, v5, v6
	s_waitcnt vmcnt(0)
	v_mul_hi_u32 v7, v6, v12
	v_mul_lo_u32 v9, v7, s1
	v_sub_u32_e32 v6, v6, v9
	v_add_u32_e32 v9, 1, v7
	v_cmp_le_u32_e64 s[2:3], s1, v6
	v_ashrrev_i32_e32 v3, 31, v5
	v_xor_b32_e32 v3, s6, v3
	v_cndmask_b32_e64 v7, v7, v9, s[2:3]
	v_subrev_u32_e32 v9, s1, v6
	v_cndmask_b32_e64 v6, v6, v9, s[2:3]
	v_add_u32_e32 v9, 1, v7
	v_cmp_le_u32_e64 s[2:3], s1, v6
	v_cmp_gt_i32_e32 vcc, s85, v8
	s_nop 0
	v_cndmask_b32_e64 v6, v7, v9, s[2:3]
	v_sub_u32_e32 v7, 0, v2
	v_max_i32_e32 v7, v2, v7
	v_mul_hi_u32 v9, v7, v70
	v_mul_lo_u32 v10, v9, s33
	v_sub_u32_e32 v7, v7, v10
	v_add_u32_e32 v10, 1, v9
	v_cmp_le_u32_e64 s[4:5], s33, v7
	v_xor_b32_e32 v6, v6, v3
	v_sub_u32_e32 v3, v6, v3
	v_cndmask_b32_e64 v9, v9, v10, s[4:5]
	v_subrev_u32_e32 v10, s33, v7
	v_cndmask_b32_e64 v7, v7, v10, s[4:5]
	v_ashrrev_i32_e32 v6, 31, v2
	v_add_u32_e32 v10, 1, v9
	v_cmp_le_u32_e64 s[4:5], s33, v7
	v_xor_b32_e32 v6, s10, v6
	v_cmp_gt_i32_e64 s[2:3], s86, v3
	v_cndmask_b32_e64 v7, v9, v10, s[4:5]
	v_xor_b32_e32 v7, v7, v6
	v_sub_u32_e32 v56, v7, v6
	v_add_u32_e32 v6, -2, v5
	v_sub_u32_e32 v9, 2, v5
	v_max_i32_e32 v9, v6, v9
	v_mul_hi_u32 v10, v9, v12
	v_mul_lo_u32 v11, v10, s1
	v_sub_u32_e32 v9, v9, v11
	v_add_u32_e32 v11, 1, v10
	v_cmp_le_u32_e64 s[4:5], s1, v9
	v_ashrrev_i32_e32 v7, 31, v6
	v_xor_b32_e32 v7, s6, v7
	v_cndmask_b32_e64 v10, v10, v11, s[4:5]
	v_subrev_u32_e32 v11, s1, v9
	v_cndmask_b32_e64 v9, v9, v11, s[4:5]
	v_add_u32_e32 v11, 1, v10
	v_cmp_le_u32_e64 s[4:5], s1, v9
	v_or_b32_e32 v16, v56, v3
	s_nop 0
	v_cndmask_b32_e64 v9, v10, v11, s[4:5]
	v_xor_b32_e32 v9, v9, v7
	v_sub_u32_e32 v57, v9, v7
	v_add_u32_e32 v9, -1, v5
	v_sub_u32_e32 v11, 1, v5
	v_max_i32_e32 v11, v9, v11
	v_mul_hi_u32 v12, v11, v12
	v_mul_lo_u32 v13, v12, s1
	v_sub_u32_e32 v11, v11, v13
	v_add_u32_e32 v13, 1, v12
	v_cmp_le_u32_e64 s[4:5], s1, v11
	v_ashrrev_i32_e32 v10, 31, v9
	v_xor_b32_e32 v10, s6, v10
	v_cndmask_b32_e64 v12, v12, v13, s[4:5]
	v_subrev_u32_e32 v13, s1, v11
	v_cndmask_b32_e64 v11, v11, v13, s[4:5]
	v_add_u32_e32 v13, 1, v12
	v_cmp_le_u32_e64 s[4:5], s1, v11
	v_or_b32_e32 v7, v56, v57
	v_or_b32_e32 v31, v7, v8
	v_cndmask_b32_e64 v11, v12, v13, s[4:5]
	v_xor_b32_e32 v11, v11, v10
	v_sub_u32_e32 v50, v11, v10
	v_add_u32_e32 v10, -2, v4
	v_sub_u32_e32 v11, 2, v4
	v_max_i32_e32 v11, v10, v11
	v_mul_hi_u32 v12, v11, v15
	v_mul_lo_u32 v14, v12, s0
	v_sub_u32_e32 v11, v11, v14
	v_add_u32_e32 v14, 1, v12
	v_cmp_le_u32_e64 s[4:5], s0, v11
	v_or_b32_e32 v13, v56, v50
	v_or_b32_e32 v28, v13, v8
	v_cndmask_b32_e64 v12, v12, v14, s[4:5]
	v_subrev_u32_e32 v14, s0, v11
	v_cndmask_b32_e64 v11, v11, v14, s[4:5]
	v_add_u32_e32 v14, 1, v12
	v_cmp_le_u32_e64 s[4:5], s0, v11
	s_nop 1
	v_cndmask_b32_e64 v18, v12, v14, s[4:5]
	v_add_u32_e32 v12, -1, v4
	v_sub_u32_e32 v14, 1, v4
	v_max_i32_e32 v14, v12, v14
	v_mul_hi_u32 v15, v14, v15
	v_mul_lo_u32 v17, v15, s0
	v_sub_u32_e32 v14, v14, v17
	v_add_u32_e32 v17, 1, v15
	v_cmp_le_u32_e64 s[4:5], s0, v14
	v_ashrrev_i32_e32 v11, 31, v12
	v_xor_b32_e32 v11, s26, v11
	v_cndmask_b32_e64 v15, v15, v17, s[4:5]
	v_subrev_u32_e32 v17, s0, v14
	v_cndmask_b32_e64 v14, v14, v17, s[4:5]
	v_add_u32_e32 v17, 1, v15
	v_cmp_le_u32_e64 s[4:5], s0, v14
	s_nop 1
	v_cndmask_b32_e64 v14, v15, v17, s[4:5]
	v_xor_b32_e32 v14, v14, v11
	v_sub_u32_e32 v26, v14, v11
	v_or_b32_e32 v11, v16, v8
	v_cmp_lt_i32_e64 s[6:7], -1, v11
	v_add_u32_e32 v11, -1, v2
	v_sub_u32_e32 v15, 1, v2
	v_max_i32_e32 v15, v11, v15
	v_mul_hi_u32 v17, v15, v70
	v_cmp_gt_i32_e64 s[4:5], s87, v56
	v_mul_lo_u32 v19, v17, s33
	s_and_b64 s[12:13], s[4:5], s[2:3]
	v_sub_u32_e32 v15, v15, v19
	s_and_b64 s[0:1], s[12:13], s[6:7]
	v_add_u32_e32 v19, 1, v17
	v_cmp_le_u32_e64 s[6:7], s33, v15
	v_ashrrev_i32_e32 v14, 31, v11
	v_xor_b32_e32 v14, s10, v14
	v_cndmask_b32_e64 v17, v17, v19, s[6:7]
	v_subrev_u32_e32 v19, s33, v15
	v_cndmask_b32_e64 v15, v15, v19, s[6:7]
	v_add_u32_e32 v19, 1, v17
	v_cmp_le_u32_e64 s[6:7], s33, v15
	s_and_b64 s[0:1], s[0:1], vcc
	v_writelane_b32 v126, s0, 51
	v_cndmask_b32_e64 v15, v17, v19, s[6:7]
	v_xor_b32_e32 v15, v15, v14
	v_sub_u32_e32 v58, v15, v14
	v_or_b32_e32 v21, v58, v3
	v_or_b32_e32 v14, v21, v8
	v_cmp_lt_i32_e64 s[8:9], -1, v14
	v_add_u32_e32 v14, -2, v2
	v_max_i32_e32 v23, v14, v23
	v_mul_hi_u32 v24, v23, v70
	v_cmp_gt_i32_e64 s[6:7], s87, v58
	v_mul_lo_u32 v25, v24, s33
	s_and_b64 s[14:15], s[6:7], s[2:3]
	v_sub_u32_e32 v23, v23, v25
	v_writelane_b32 v126, s1, 52
	s_and_b64 s[0:1], s[14:15], s[8:9]
	v_add_u32_e32 v25, 1, v24
	v_cmp_le_u32_e64 s[8:9], s33, v23
	v_ashrrev_i32_e32 v17, 31, v14
	v_xor_b32_e32 v17, s10, v17
	v_cndmask_b32_e64 v24, v24, v25, s[8:9]
	v_subrev_u32_e32 v25, s33, v23
	v_cndmask_b32_e64 v23, v23, v25, s[8:9]
	v_add_u32_e32 v25, 1, v24
	v_cmp_le_u32_e64 s[8:9], s33, v23
	s_and_b64 s[0:1], s[0:1], vcc
	v_writelane_b32 v126, s0, 53
	v_cndmask_b32_e64 v23, v24, v25, s[8:9]
	v_xor_b32_e32 v23, v23, v17
	v_sub_u32_e32 v60, v23, v17
	v_or_b32_e32 v24, v60, v3
	v_or_b32_e32 v27, v24, v8
	v_cmp_gt_i32_e64 s[10:11], s87, v60
	v_cmp_lt_i32_e64 s[8:9], -1, v27
	s_and_b64 s[16:17], s[10:11], s[2:3]
	v_writelane_b32 v126, s1, 54
	s_and_b64 s[0:1], s[16:17], s[8:9]
	s_and_b64 s[0:1], s[0:1], vcc
	v_cmp_gt_i32_e64 s[2:3], s86, v50
	v_writelane_b32 v126, s0, 55
	v_cmp_lt_i32_e64 s[8:9], -1, v28
	s_and_b64 s[20:21], s[4:5], s[2:3]
	v_or_b32_e32 v19, v58, v50
	v_writelane_b32 v126, s1, 56
	s_and_b64 s[0:1], s[20:21], s[8:9]
	s_and_b64 s[0:1], s[0:1], vcc
	v_or_b32_e32 v29, v19, v8
	v_writelane_b32 v126, s0, 57
	v_cmp_lt_i32_e64 s[8:9], -1, v29
	s_and_b64 s[22:23], s[6:7], s[2:3]
	v_or_b32_e32 v23, v60, v50
	v_writelane_b32 v126, s1, 58
	s_and_b64 s[0:1], s[22:23], s[8:9]
	s_and_b64 s[0:1], s[0:1], vcc
	v_or_b32_e32 v30, v23, v8
	v_writelane_b32 v126, s0, 59
	v_cmp_lt_i32_e64 s[8:9], -1, v30
	s_and_b64 s[24:25], s[10:11], s[2:3]
	v_writelane_b32 v126, s1, 60
	s_and_b64 s[0:1], s[24:25], s[8:9]
	s_and_b64 s[0:1], s[0:1], vcc
	v_cmp_gt_i32_e64 s[2:3], s86, v57
	v_writelane_b32 v126, s0, 61
	v_cmp_lt_i32_e64 s[8:9], -1, v31
	s_and_b64 s[18:19], s[4:5], s[2:3]
	v_or_b32_e32 v15, v58, v57
	v_writelane_b32 v126, s1, 62
	s_and_b64 s[0:1], s[18:19], s[8:9]
	v_or_b32_e32 v17, v60, v57
	s_and_b64 s[0:1], s[0:1], vcc
	v_or_b32_e32 v32, v15, v8
	v_writelane_b32 v126, s0, 63
	v_cmp_lt_i32_e64 s[4:5], -1, v32
	s_and_b64 s[8:9], s[6:7], s[2:3]
	v_or_b32_e32 v33, v17, v8
	v_or_b32_e32 v20, v16, v26
	v_writelane_b32 v127, s1, 0
	s_and_b64 s[0:1], s[8:9], s[4:5]
	v_cmp_lt_i32_e64 s[4:5], -1, v33
	s_and_b64 s[10:11], s[10:11], s[2:3]
	s_and_b64 s[78:79], s[0:1], vcc
	s_and_b64 s[0:1], s[10:11], s[4:5]
	v_cmp_lt_i32_e64 s[2:3], -1, v20
	v_or_b32_e32 v22, v21, v26
	s_and_b64 s[0:1], s[0:1], vcc
	v_cmp_gt_i32_e32 vcc, s85, v26
	s_and_b64 s[2:3], s[12:13], s[2:3]
	s_and_b64 s[76:77], s[2:3], vcc
	v_cmp_lt_i32_e64 s[2:3], -1, v22
	v_or_b32_e32 v25, v24, v26
	s_and_b64 s[2:3], s[14:15], s[2:3]
	s_and_b64 s[82:83], s[2:3], vcc
	v_cmp_lt_i32_e64 s[2:3], -1, v25
	v_or_b32_e32 v27, v13, v26
	;; [unrolled: 4-line block ×6, first 2 shown]
	s_and_b64 s[2:3], s[18:19], s[2:3]
	v_ashrrev_i32_e32 v20, 31, v10
	s_and_b64 s[74:75], s[2:3], vcc
	v_cmp_lt_i32_e64 s[2:3], -1, v31
	v_xor_b32_e32 v20, s26, v20
	v_or_b32_e32 v32, v17, v26
	s_and_b64 s[2:3], s[8:9], s[2:3]
	v_xor_b32_e32 v18, v18, v20
	s_and_b64 s[68:69], s[2:3], vcc
	v_cmp_lt_i32_e64 s[2:3], -1, v32
	v_sub_u32_e32 v44, v18, v20
	s_and_b64 s[2:3], s[10:11], s[2:3]
	v_or_b32_e32 v16, v16, v44
	s_and_b64 s[70:71], s[2:3], vcc
	v_cmp_lt_i32_e32 vcc, -1, v16
	v_or_b32_e32 v16, v21, v44
	s_and_b64 s[12:13], s[12:13], vcc
	v_cmp_lt_i32_e32 vcc, -1, v16
	;; [unrolled: 3-line block ×6, first 2 shown]
	v_mul_lo_u32 v13, v8, s44
	v_mul_lo_u32 v16, v3, s45
	;; [unrolled: 1-line block ×4, first 2 shown]
	s_and_b64 s[24:25], s[24:25], vcc
	v_cmp_eq_u32_e32 vcc, v13, v4
	v_cmp_eq_u32_e64 s[2:3], v16, v5
	v_cmp_eq_u32_e64 s[4:5], v18, v9
	;; [unrolled: 1-line block ×3, first 2 shown]
	v_mul_lo_u32 v4, v26, s44
	s_and_b64 s[26:27], vcc, s[2:3]
	s_and_b64 s[28:29], vcc, s[4:5]
	;; [unrolled: 1-line block ×3, first 2 shown]
	v_cmp_eq_u32_e32 vcc, v4, v12
	v_mul_lo_u32 v4, v44, s44
	s_and_b64 s[34:35], vcc, s[2:3]
	s_and_b64 s[36:37], vcc, s[4:5]
	;; [unrolled: 1-line block ×3, first 2 shown]
	v_cmp_eq_u32_e32 vcc, v4, v10
	v_or_b32_e32 v4, v7, v44
	s_and_b64 s[42:43], vcc, s[2:3]
	s_and_b64 s[48:49], vcc, s[4:5]
	;; [unrolled: 1-line block ×3, first 2 shown]
	v_cmp_lt_i32_e32 vcc, -1, v4
	v_or_b32_e32 v4, v15, v44
	s_and_b64 s[2:3], s[18:19], vcc
	v_cmp_lt_i32_e32 vcc, -1, v4
	v_or_b32_e32 v4, v17, v44
	s_and_b64 s[4:5], s[8:9], vcc
	v_cmp_lt_i32_e32 vcc, -1, v4
	v_mul_lo_u32 v4, v56, s46
	v_mul_lo_u32 v5, v58, s46
	;; [unrolled: 1-line block ×3, first 2 shown]
	s_and_b64 s[6:7], s[10:11], vcc
	v_cmp_gt_i32_e32 vcc, s85, v44
	v_cmp_eq_u32_e64 s[50:51], v4, v2
	v_cmp_eq_u32_e64 s[52:53], v5, v11
	;; [unrolled: 1-line block ×3, first 2 shown]
	v_readlane_b32 s88, v126, 18
	v_mul_lo_u32 v20, v8, s86
	v_mul_lo_u32 v38, v26, s86
	;; [unrolled: 1-line block ×3, first 2 shown]
	s_and_b64 s[90:91], s[12:13], vcc
	s_and_b64 s[64:65], s[14:15], vcc
	;; [unrolled: 1-line block ×9, first 2 shown]
	s_and_b64 vcc, s[26:27], s[50:51]
	s_and_b64 s[2:3], s[26:27], s[52:53]
	s_and_b64 s[4:5], s[26:27], s[54:55]
	;; [unrolled: 1-line block ×26, first 2 shown]
	v_readlane_b32 s57, v126, 16
	v_readlane_b32 s89, v126, 19
	v_add_u32_e32 v8, v3, v20
	v_add_u32_e32 v26, v3, v38
	;; [unrolled: 1-line block ×3, first 2 shown]
	s_mul_i32 s56, s89, s57
	v_mul_lo_u32 v3, v3, s87
	v_mul_lo_u32 v2, s56, v74
	;; [unrolled: 1-line block ×3, first 2 shown]
	v_readlane_b32 s56, v126, 17
	v_add_u32_e32 v44, v56, v3
	v_add_u32_e32 v46, v58, v3
	;; [unrolled: 1-line block ×5, first 2 shown]
	v_mul_lo_u32 v4, s56, v76
	v_readlane_b32 s56, v126, 22
	v_mul_lo_u32 v3, v3, s87
	v_ashrrev_i32_e32 v5, 31, v4
	v_readlane_b32 s57, v126, 23
	v_add_u32_e32 v14, v50, v20
	v_add_u32_e32 v20, v57, v20
	;; [unrolled: 1-line block ×8, first 2 shown]
	v_lshl_add_u64 v[4:5], v[4:5], 1, s[56:57]
	v_mul_lo_u32 v6, s88, v75
	v_readlane_b32 s56, v126, 7
	v_mul_lo_u32 v12, v8, s87
	v_mul_lo_u32 v18, v14, s87
	;; [unrolled: 1-line block ×7, first 2 shown]
	v_ashrrev_i32_e32 v7, 31, v6
	v_readlane_b32 s57, v126, 8
	v_add_u32_e32 v8, v56, v12
	v_add_u32_e32 v10, v58, v12
	;; [unrolled: 1-line block ×21, first 2 shown]
	v_lshl_add_u64 v[6:7], v[6:7], 1, s[56:57]
	v_ashrrev_i32_e32 v9, 31, v8
	v_ashrrev_i32_e32 v11, 31, v10
	;; [unrolled: 1-line block ×27, first 2 shown]
	s_mov_b64 s[88:89], 0
	s_branch .LBB28_5
.LBB28_4:                               ;   in Loop: Header=BB28_5 Depth=2
	s_or_b64 exec, exec, s[56:57]
	s_waitcnt vmcnt(26)
	v_lshlrev_b32_e32 v62, 16, v79
	v_fma_f32 v3, v3, v62, v78
	v_cndmask_b32_e32 v3, v78, v3, vcc
	s_waitcnt vmcnt(25)
	v_lshlrev_b32_e32 v62, 16, v80
	v_fma_f32 v62, v82, v62, v3
	v_cndmask_b32_e64 v3, v3, v62, s[2:3]
	s_waitcnt vmcnt(24)
	v_lshlrev_b32_e32 v62, 16, v83
	v_fma_f32 v62, v81, v62, v3
	v_cndmask_b32_e64 v3, v3, v62, s[4:5]
	s_waitcnt vmcnt(23)
	v_lshlrev_b32_e32 v62, 16, v84
	v_fma_f32 v62, v86, v62, v3
	v_cndmask_b32_e64 v3, v3, v62, s[6:7]
	s_waitcnt vmcnt(22)
	v_lshlrev_b32_e32 v62, 16, v87
	v_fma_f32 v62, v85, v62, v3
	v_cndmask_b32_e64 v3, v3, v62, s[8:9]
	s_waitcnt vmcnt(21)
	v_lshlrev_b32_e32 v62, 16, v88
	v_fma_f32 v62, v90, v62, v3
	v_cndmask_b32_e64 v3, v3, v62, s[10:11]
	s_waitcnt vmcnt(20)
	v_lshlrev_b32_e32 v62, 16, v91
	v_fma_f32 v62, v89, v62, v3
	v_cndmask_b32_e64 v3, v3, v62, s[12:13]
	s_waitcnt vmcnt(19)
	v_lshlrev_b32_e32 v62, 16, v92
	v_fma_f32 v62, v94, v62, v3
	v_cndmask_b32_e64 v3, v3, v62, s[14:15]
	s_waitcnt vmcnt(18)
	v_lshlrev_b32_e32 v62, 16, v95
	v_fma_f32 v62, v93, v62, v3
	v_cndmask_b32_e64 v3, v3, v62, s[16:17]
	s_waitcnt vmcnt(17)
	v_lshlrev_b32_e32 v62, 16, v96
	v_fma_f32 v62, v98, v62, v3
	v_cndmask_b32_e64 v3, v3, v62, s[18:19]
	s_waitcnt vmcnt(16)
	v_lshlrev_b32_e32 v62, 16, v99
	v_fma_f32 v62, v97, v62, v3
	v_cndmask_b32_e64 v3, v3, v62, s[20:21]
	s_waitcnt vmcnt(15)
	v_lshlrev_b32_e32 v62, 16, v100
	v_fma_f32 v62, v102, v62, v3
	v_cndmask_b32_e64 v3, v3, v62, s[22:23]
	s_waitcnt vmcnt(14)
	v_lshlrev_b32_e32 v62, 16, v103
	v_fma_f32 v62, v101, v62, v3
	v_cndmask_b32_e64 v3, v3, v62, s[24:25]
	s_waitcnt vmcnt(13)
	v_lshlrev_b32_e32 v62, 16, v104
	v_fma_f32 v62, v106, v62, v3
	v_cndmask_b32_e64 v3, v3, v62, s[26:27]
	s_waitcnt vmcnt(12)
	v_lshlrev_b32_e32 v62, 16, v107
	v_fma_f32 v62, v105, v62, v3
	v_cndmask_b32_e64 v3, v3, v62, s[28:29]
	s_waitcnt vmcnt(11)
	v_lshlrev_b32_e32 v62, 16, v108
	v_fma_f32 v62, v110, v62, v3
	v_cndmask_b32_e64 v3, v3, v62, s[30:31]
	s_waitcnt vmcnt(10)
	v_lshlrev_b32_e32 v62, 16, v111
	v_fma_f32 v62, v109, v62, v3
	v_cndmask_b32_e64 v3, v3, v62, s[34:35]
	s_waitcnt vmcnt(9)
	v_lshlrev_b32_e32 v62, 16, v112
	v_fma_f32 v62, v114, v62, v3
	v_cndmask_b32_e64 v3, v3, v62, s[36:37]
	s_waitcnt vmcnt(8)
	v_lshlrev_b32_e32 v62, 16, v115
	v_fma_f32 v62, v113, v62, v3
	v_cndmask_b32_e64 v3, v3, v62, s[38:39]
	s_waitcnt vmcnt(7)
	v_lshlrev_b32_e32 v62, 16, v116
	v_fma_f32 v62, v118, v62, v3
	v_cndmask_b32_e64 v3, v3, v62, s[40:41]
	s_waitcnt vmcnt(6)
	v_lshlrev_b32_e32 v62, 16, v119
	v_fma_f32 v62, v117, v62, v3
	v_cndmask_b32_e64 v3, v3, v62, s[42:43]
	s_waitcnt vmcnt(5)
	v_lshlrev_b32_e32 v62, 16, v120
	v_fma_f32 v62, v122, v62, v3
	v_cndmask_b32_e64 v3, v3, v62, s[44:45]
	s_waitcnt vmcnt(4)
	v_lshlrev_b32_e32 v62, 16, v123
	v_fma_f32 v62, v121, v62, v3
	v_cndmask_b32_e64 v3, v3, v62, s[46:47]
	s_waitcnt vmcnt(3)
	v_lshlrev_b32_e32 v62, 16, v124
	v_fma_f32 v62, v64, v62, v3
	v_cndmask_b32_e64 v3, v3, v62, s[48:49]
	s_waitcnt vmcnt(2)
	v_lshlrev_b32_e32 v62, 16, v65
	v_fma_f32 v62, v125, v62, v3
	v_cndmask_b32_e64 v3, v3, v62, s[50:51]
	s_waitcnt vmcnt(1)
	v_lshlrev_b32_e32 v62, 16, v66
	v_add_u32_e32 v76, 1, v76
	v_fma_f32 v62, v68, v62, v3
	v_cmp_ge_i32_e64 s[56:57], v76, v77
	v_cndmask_b32_e64 v3, v3, v62, s[52:53]
	s_waitcnt vmcnt(0)
	v_lshlrev_b32_e32 v62, 16, v69
	s_or_b64 s[88:89], s[56:57], s[88:89]
	v_readlane_b32 s56, v126, 18
	v_fma_f32 v62, v67, v62, v3
	v_readlane_b32 s57, v126, 19
	v_cndmask_b32_e64 v78, v3, v62, s[54:55]
	v_lshl_add_u64 v[4:5], v[4:5], 0, 54
	v_add_u32_e32 v2, s57, v2
	s_andn2_b64 exec, exec, s[88:89]
	s_cbranch_execz .LBB28_59
.LBB28_5:                               ;   Parent Loop BB28_2 Depth=1
                                        ; =>  This Inner Loop Header: Depth=2
	global_load_ushort v79, v[4:5], off
	v_ashrrev_i32_e32 v3, 31, v2
	v_lshl_add_u64 v[62:63], v[2:3], 1, v[6:7]
	v_mov_b32_e32 v3, 0
	s_mov_b64 s[56:57], exec
	v_readlane_b32 s86, v126, 51
	v_readlane_b32 s87, v126, 52
	s_and_b64 s[86:87], s[56:57], s[86:87]
	s_mov_b64 exec, s[86:87]
	s_cbranch_execz .LBB28_7
; %bb.6:                                ;   in Loop: Header=BB28_5 Depth=2
	v_lshl_add_u64 v[64:65], v[8:9], 1, v[62:63]
	global_load_ushort v3, v[64:65], off
	s_waitcnt vmcnt(0)
	v_lshlrev_b32_e32 v3, 16, v3
.LBB28_7:                               ;   in Loop: Header=BB28_5 Depth=2
	s_or_b64 exec, exec, s[56:57]
	global_load_ushort v80, v[4:5], off offset:2
	v_mov_b32_e32 v81, 0
	v_mov_b32_e32 v82, 0
	s_mov_b64 s[56:57], exec
	v_readlane_b32 s86, v126, 53
	v_readlane_b32 s87, v126, 54
	s_and_b64 s[86:87], s[56:57], s[86:87]
	s_mov_b64 exec, s[86:87]
	s_cbranch_execz .LBB28_9
; %bb.8:                                ;   in Loop: Header=BB28_5 Depth=2
	v_lshl_add_u64 v[64:65], v[10:11], 1, v[62:63]
	global_load_ushort v64, v[64:65], off
	s_waitcnt vmcnt(0)
	v_lshlrev_b32_e32 v82, 16, v64
.LBB28_9:                               ;   in Loop: Header=BB28_5 Depth=2
	s_or_b64 exec, exec, s[56:57]
	global_load_ushort v83, v[4:5], off offset:4
	s_mov_b64 s[56:57], exec
	v_readlane_b32 s86, v126, 55
	v_readlane_b32 s87, v126, 56
	s_and_b64 s[86:87], s[56:57], s[86:87]
	s_mov_b64 exec, s[86:87]
	s_cbranch_execz .LBB28_11
; %bb.10:                               ;   in Loop: Header=BB28_5 Depth=2
	v_lshl_add_u64 v[64:65], v[12:13], 1, v[62:63]
	global_load_ushort v64, v[64:65], off
	s_waitcnt vmcnt(0)
	v_lshlrev_b32_e32 v81, 16, v64
.LBB28_11:                              ;   in Loop: Header=BB28_5 Depth=2
	s_or_b64 exec, exec, s[56:57]
	global_load_ushort v84, v[4:5], off offset:6
	v_mov_b32_e32 v85, 0
	v_mov_b32_e32 v86, 0
	s_mov_b64 s[56:57], exec
	v_readlane_b32 s86, v126, 57
	v_readlane_b32 s87, v126, 58
	s_and_b64 s[86:87], s[56:57], s[86:87]
	s_mov_b64 exec, s[86:87]
	s_cbranch_execz .LBB28_13
; %bb.12:                               ;   in Loop: Header=BB28_5 Depth=2
	v_lshl_add_u64 v[64:65], v[14:15], 1, v[62:63]
	global_load_ushort v64, v[64:65], off
	s_waitcnt vmcnt(0)
	v_lshlrev_b32_e32 v86, 16, v64
.LBB28_13:                              ;   in Loop: Header=BB28_5 Depth=2
	s_or_b64 exec, exec, s[56:57]
	global_load_ushort v87, v[4:5], off offset:8
	s_mov_b64 s[56:57], exec
	v_readlane_b32 s86, v126, 59
	v_readlane_b32 s87, v126, 60
	s_and_b64 s[86:87], s[56:57], s[86:87]
	s_mov_b64 exec, s[86:87]
	s_cbranch_execz .LBB28_15
; %bb.14:                               ;   in Loop: Header=BB28_5 Depth=2
	v_lshl_add_u64 v[64:65], v[16:17], 1, v[62:63]
	global_load_ushort v64, v[64:65], off
	s_waitcnt vmcnt(0)
	v_lshlrev_b32_e32 v85, 16, v64
.LBB28_15:                              ;   in Loop: Header=BB28_5 Depth=2
	s_or_b64 exec, exec, s[56:57]
	global_load_ushort v88, v[4:5], off offset:10
	v_mov_b32_e32 v89, 0
	v_mov_b32_e32 v90, 0
	s_mov_b64 s[56:57], exec
	v_readlane_b32 s86, v126, 61
	v_readlane_b32 s87, v126, 62
	s_and_b64 s[86:87], s[56:57], s[86:87]
	s_mov_b64 exec, s[86:87]
	s_cbranch_execz .LBB28_17
; %bb.16:                               ;   in Loop: Header=BB28_5 Depth=2
	v_lshl_add_u64 v[64:65], v[18:19], 1, v[62:63]
	global_load_ushort v64, v[64:65], off
	s_waitcnt vmcnt(0)
	v_lshlrev_b32_e32 v90, 16, v64
.LBB28_17:                              ;   in Loop: Header=BB28_5 Depth=2
	s_or_b64 exec, exec, s[56:57]
	global_load_ushort v91, v[4:5], off offset:12
	s_mov_b64 s[56:57], exec
	v_readlane_b32 s86, v126, 63
	v_readlane_b32 s87, v127, 0
	s_and_b64 s[86:87], s[56:57], s[86:87]
	s_mov_b64 exec, s[86:87]
	s_cbranch_execz .LBB28_19
; %bb.18:                               ;   in Loop: Header=BB28_5 Depth=2
	v_lshl_add_u64 v[64:65], v[20:21], 1, v[62:63]
	global_load_ushort v64, v[64:65], off
	s_waitcnt vmcnt(0)
	v_lshlrev_b32_e32 v89, 16, v64
.LBB28_19:                              ;   in Loop: Header=BB28_5 Depth=2
	s_or_b64 exec, exec, s[56:57]
	global_load_ushort v92, v[4:5], off offset:14
	v_mov_b32_e32 v93, 0
	v_mov_b32_e32 v94, 0
	s_and_saveexec_b64 s[56:57], s[78:79]
	s_cbranch_execz .LBB28_21
; %bb.20:                               ;   in Loop: Header=BB28_5 Depth=2
	v_lshl_add_u64 v[64:65], v[22:23], 1, v[62:63]
	global_load_ushort v64, v[64:65], off
	s_waitcnt vmcnt(0)
	v_lshlrev_b32_e32 v94, 16, v64
.LBB28_21:                              ;   in Loop: Header=BB28_5 Depth=2
	s_or_b64 exec, exec, s[56:57]
	global_load_ushort v95, v[4:5], off offset:16
	s_and_saveexec_b64 s[56:57], s[0:1]
	s_cbranch_execz .LBB28_23
; %bb.22:                               ;   in Loop: Header=BB28_5 Depth=2
	v_lshl_add_u64 v[64:65], v[24:25], 1, v[62:63]
	global_load_ushort v64, v[64:65], off
	s_waitcnt vmcnt(0)
	v_lshlrev_b32_e32 v93, 16, v64
.LBB28_23:                              ;   in Loop: Header=BB28_5 Depth=2
	s_or_b64 exec, exec, s[56:57]
	global_load_ushort v96, v[4:5], off offset:18
	v_mov_b32_e32 v97, 0
	v_mov_b32_e32 v98, 0
	s_and_saveexec_b64 s[56:57], s[76:77]
	s_cbranch_execz .LBB28_25
; %bb.24:                               ;   in Loop: Header=BB28_5 Depth=2
	v_lshl_add_u64 v[64:65], v[26:27], 1, v[62:63]
	global_load_ushort v64, v[64:65], off
	s_waitcnt vmcnt(0)
	v_lshlrev_b32_e32 v98, 16, v64
.LBB28_25:                              ;   in Loop: Header=BB28_5 Depth=2
	s_or_b64 exec, exec, s[56:57]
	global_load_ushort v99, v[4:5], off offset:20
	s_and_saveexec_b64 s[56:57], s[82:83]
	;; [unrolled: 22-line block ×10, first 2 shown]
	s_cbranch_execz .LBB28_4
; %bb.58:                               ;   in Loop: Header=BB28_5 Depth=2
	v_lshl_add_u64 v[62:63], v[60:61], 1, v[62:63]
	global_load_ushort v62, v[62:63], off
	s_waitcnt vmcnt(0)
	v_lshlrev_b32_e32 v67, 16, v62
	s_branch .LBB28_4
.LBB28_59:                              ;   in Loop: Header=BB28_2 Depth=1
	s_or_b64 exec, exec, s[88:89]
	v_readlane_b32 s16, v126, 47
	v_readlane_b32 s17, v126, 48
	s_branch .LBB28_61
.LBB28_60:                              ;   in Loop: Header=BB28_2 Depth=1
	v_mov_b32_e32 v78, 0
.LBB28_61:                              ;   in Loop: Header=BB28_2 Depth=1
	v_readlane_b32 s4, v126, 49
	v_readlane_b32 s5, v126, 50
; %bb.62:                               ;   in Loop: Header=BB28_2 Depth=1
	v_bfe_u32 v2, v78, 16, 1
	s_movk_i32 s0, 0x7fff
	v_add3_u32 v2, v78, v2, s0
	v_cmp_o_f32_e32 vcc, v78, v78
	v_mov_b32_e32 v3, 0x7fc0
	v_readlane_b32 s0, v126, 20
	v_cndmask_b32_sdwa v6, v3, v2, vcc dst_sel:DWORD dst_unused:UNUSED_PAD src0_sel:DWORD src1_sel:WORD_1
	v_mul_lo_u32 v2, v75, s17
	v_ashrrev_i32_e32 v3, 31, v2
	v_readlane_b32 s1, v126, 21
	s_nop 1
	v_lshl_add_u64 v[2:3], v[2:3], 1, s[0:1]
	v_readlane_b32 s0, v126, 24
	v_readlane_b32 s1, v126, 25
	;; [unrolled: 1-line block ×3, first 2 shown]
	v_mul_lo_u32 v4, s0, v74
	v_ashrrev_i32_e32 v5, 31, v4
	v_lshl_add_u64 v[2:3], v[4:5], 1, v[2:3]
	v_mul_lo_u32 v4, s1, v73
	v_ashrrev_i32_e32 v5, 31, v4
	v_readlane_b32 s0, v126, 28
	v_lshl_add_u64 v[2:3], v[4:5], 1, v[2:3]
	v_mul_lo_u32 v4, s2, v72
	v_readlane_b32 s1, v126, 29
	v_readlane_b32 s3, v126, 27
	v_ashrrev_i32_e32 v5, 31, v4
	v_lshl_add_u64 v[0:1], v[0:1], 0, s[0:1]
	v_readlane_b32 s0, v126, 5
	v_lshl_add_u64 v[2:3], v[4:5], 1, v[2:3]
	v_mul_lo_u32 v4, s3, v71
	v_readlane_b32 s1, v126, 6
	v_ashrrev_i32_e32 v5, 31, v4
	v_lshl_add_u64 v[2:3], v[4:5], 1, v[2:3]
	v_cmp_le_i64_e32 vcc, s[0:1], v[0:1]
	s_or_b64 s[4:5], vcc, s[4:5]
	global_store_short v[2:3], v6, off
	s_andn2_b64 exec, exec, s[4:5]
	s_cbranch_execnz .LBB28_2
.LBB28_63:
	s_endpgm
	.section	.rodata,"a",@progbits
	.p2align	6, 0x0
	.amdhsa_kernel _ZN2at6native12_GLOBAL__N_143conv_depthwise3d_cuda_backward_input_kernelIN3c108BFloat16EfLi3ELi3ELi3ELi1ELi1ELi1ELin1ELin1ELin1EEEvN5torch10headeronly6detail27GenericPackedTensorAccessorINS7_14TensorAccessorINS3_8ArrayRefIlEEKT_Lm4ENS6_16DefaultPtrTraitsEiEENS_6detail16IndexBoundsCheckILm5EiEESD_Lm5ESE_iEENS8_INS9_ISB_SC_Lm4ESE_iEESI_SC_Lm5ESE_iEESJ_iiiiiiiii
		.amdhsa_group_segment_fixed_size 0
		.amdhsa_private_segment_fixed_size 28
		.amdhsa_kernarg_size 440
		.amdhsa_user_sgpr_count 2
		.amdhsa_user_sgpr_dispatch_ptr 0
		.amdhsa_user_sgpr_queue_ptr 0
		.amdhsa_user_sgpr_kernarg_segment_ptr 1
		.amdhsa_user_sgpr_dispatch_id 0
		.amdhsa_user_sgpr_kernarg_preload_length 0
		.amdhsa_user_sgpr_kernarg_preload_offset 0
		.amdhsa_user_sgpr_private_segment_size 0
		.amdhsa_uses_dynamic_stack 0
		.amdhsa_enable_private_segment 1
		.amdhsa_system_sgpr_workgroup_id_x 1
		.amdhsa_system_sgpr_workgroup_id_y 0
		.amdhsa_system_sgpr_workgroup_id_z 0
		.amdhsa_system_sgpr_workgroup_info 0
		.amdhsa_system_vgpr_workitem_id 0
		.amdhsa_next_free_vgpr 128
		.amdhsa_next_free_sgpr 100
		.amdhsa_accum_offset 128
		.amdhsa_reserve_vcc 1
		.amdhsa_float_round_mode_32 0
		.amdhsa_float_round_mode_16_64 0
		.amdhsa_float_denorm_mode_32 3
		.amdhsa_float_denorm_mode_16_64 3
		.amdhsa_dx10_clamp 1
		.amdhsa_ieee_mode 1
		.amdhsa_fp16_overflow 0
		.amdhsa_tg_split 0
		.amdhsa_exception_fp_ieee_invalid_op 0
		.amdhsa_exception_fp_denorm_src 0
		.amdhsa_exception_fp_ieee_div_zero 0
		.amdhsa_exception_fp_ieee_overflow 0
		.amdhsa_exception_fp_ieee_underflow 0
		.amdhsa_exception_fp_ieee_inexact 0
		.amdhsa_exception_int_div_zero 0
	.end_amdhsa_kernel
	.section	.text._ZN2at6native12_GLOBAL__N_143conv_depthwise3d_cuda_backward_input_kernelIN3c108BFloat16EfLi3ELi3ELi3ELi1ELi1ELi1ELin1ELin1ELin1EEEvN5torch10headeronly6detail27GenericPackedTensorAccessorINS7_14TensorAccessorINS3_8ArrayRefIlEEKT_Lm4ENS6_16DefaultPtrTraitsEiEENS_6detail16IndexBoundsCheckILm5EiEESD_Lm5ESE_iEENS8_INS9_ISB_SC_Lm4ESE_iEESI_SC_Lm5ESE_iEESJ_iiiiiiiii,"axG",@progbits,_ZN2at6native12_GLOBAL__N_143conv_depthwise3d_cuda_backward_input_kernelIN3c108BFloat16EfLi3ELi3ELi3ELi1ELi1ELi1ELin1ELin1ELin1EEEvN5torch10headeronly6detail27GenericPackedTensorAccessorINS7_14TensorAccessorINS3_8ArrayRefIlEEKT_Lm4ENS6_16DefaultPtrTraitsEiEENS_6detail16IndexBoundsCheckILm5EiEESD_Lm5ESE_iEENS8_INS9_ISB_SC_Lm4ESE_iEESI_SC_Lm5ESE_iEESJ_iiiiiiiii,comdat
.Lfunc_end28:
	.size	_ZN2at6native12_GLOBAL__N_143conv_depthwise3d_cuda_backward_input_kernelIN3c108BFloat16EfLi3ELi3ELi3ELi1ELi1ELi1ELin1ELin1ELin1EEEvN5torch10headeronly6detail27GenericPackedTensorAccessorINS7_14TensorAccessorINS3_8ArrayRefIlEEKT_Lm4ENS6_16DefaultPtrTraitsEiEENS_6detail16IndexBoundsCheckILm5EiEESD_Lm5ESE_iEENS8_INS9_ISB_SC_Lm4ESE_iEESI_SC_Lm5ESE_iEESJ_iiiiiiiii, .Lfunc_end28-_ZN2at6native12_GLOBAL__N_143conv_depthwise3d_cuda_backward_input_kernelIN3c108BFloat16EfLi3ELi3ELi3ELi1ELi1ELi1ELin1ELin1ELin1EEEvN5torch10headeronly6detail27GenericPackedTensorAccessorINS7_14TensorAccessorINS3_8ArrayRefIlEEKT_Lm4ENS6_16DefaultPtrTraitsEiEENS_6detail16IndexBoundsCheckILm5EiEESD_Lm5ESE_iEENS8_INS9_ISB_SC_Lm4ESE_iEESI_SC_Lm5ESE_iEESJ_iiiiiiiii
                                        ; -- End function
	.set _ZN2at6native12_GLOBAL__N_143conv_depthwise3d_cuda_backward_input_kernelIN3c108BFloat16EfLi3ELi3ELi3ELi1ELi1ELi1ELin1ELin1ELin1EEEvN5torch10headeronly6detail27GenericPackedTensorAccessorINS7_14TensorAccessorINS3_8ArrayRefIlEEKT_Lm4ENS6_16DefaultPtrTraitsEiEENS_6detail16IndexBoundsCheckILm5EiEESD_Lm5ESE_iEENS8_INS9_ISB_SC_Lm4ESE_iEESI_SC_Lm5ESE_iEESJ_iiiiiiiii.num_vgpr, 128
	.set _ZN2at6native12_GLOBAL__N_143conv_depthwise3d_cuda_backward_input_kernelIN3c108BFloat16EfLi3ELi3ELi3ELi1ELi1ELi1ELin1ELin1ELin1EEEvN5torch10headeronly6detail27GenericPackedTensorAccessorINS7_14TensorAccessorINS3_8ArrayRefIlEEKT_Lm4ENS6_16DefaultPtrTraitsEiEENS_6detail16IndexBoundsCheckILm5EiEESD_Lm5ESE_iEENS8_INS9_ISB_SC_Lm4ESE_iEESI_SC_Lm5ESE_iEESJ_iiiiiiiii.num_agpr, 0
	.set _ZN2at6native12_GLOBAL__N_143conv_depthwise3d_cuda_backward_input_kernelIN3c108BFloat16EfLi3ELi3ELi3ELi1ELi1ELi1ELin1ELin1ELin1EEEvN5torch10headeronly6detail27GenericPackedTensorAccessorINS7_14TensorAccessorINS3_8ArrayRefIlEEKT_Lm4ENS6_16DefaultPtrTraitsEiEENS_6detail16IndexBoundsCheckILm5EiEESD_Lm5ESE_iEENS8_INS9_ISB_SC_Lm4ESE_iEESI_SC_Lm5ESE_iEESJ_iiiiiiiii.numbered_sgpr, 100
	.set _ZN2at6native12_GLOBAL__N_143conv_depthwise3d_cuda_backward_input_kernelIN3c108BFloat16EfLi3ELi3ELi3ELi1ELi1ELi1ELin1ELin1ELin1EEEvN5torch10headeronly6detail27GenericPackedTensorAccessorINS7_14TensorAccessorINS3_8ArrayRefIlEEKT_Lm4ENS6_16DefaultPtrTraitsEiEENS_6detail16IndexBoundsCheckILm5EiEESD_Lm5ESE_iEENS8_INS9_ISB_SC_Lm4ESE_iEESI_SC_Lm5ESE_iEESJ_iiiiiiiii.num_named_barrier, 0
	.set _ZN2at6native12_GLOBAL__N_143conv_depthwise3d_cuda_backward_input_kernelIN3c108BFloat16EfLi3ELi3ELi3ELi1ELi1ELi1ELin1ELin1ELin1EEEvN5torch10headeronly6detail27GenericPackedTensorAccessorINS7_14TensorAccessorINS3_8ArrayRefIlEEKT_Lm4ENS6_16DefaultPtrTraitsEiEENS_6detail16IndexBoundsCheckILm5EiEESD_Lm5ESE_iEENS8_INS9_ISB_SC_Lm4ESE_iEESI_SC_Lm5ESE_iEESJ_iiiiiiiii.private_seg_size, 28
	.set _ZN2at6native12_GLOBAL__N_143conv_depthwise3d_cuda_backward_input_kernelIN3c108BFloat16EfLi3ELi3ELi3ELi1ELi1ELi1ELin1ELin1ELin1EEEvN5torch10headeronly6detail27GenericPackedTensorAccessorINS7_14TensorAccessorINS3_8ArrayRefIlEEKT_Lm4ENS6_16DefaultPtrTraitsEiEENS_6detail16IndexBoundsCheckILm5EiEESD_Lm5ESE_iEENS8_INS9_ISB_SC_Lm4ESE_iEESI_SC_Lm5ESE_iEESJ_iiiiiiiii.uses_vcc, 1
	.set _ZN2at6native12_GLOBAL__N_143conv_depthwise3d_cuda_backward_input_kernelIN3c108BFloat16EfLi3ELi3ELi3ELi1ELi1ELi1ELin1ELin1ELin1EEEvN5torch10headeronly6detail27GenericPackedTensorAccessorINS7_14TensorAccessorINS3_8ArrayRefIlEEKT_Lm4ENS6_16DefaultPtrTraitsEiEENS_6detail16IndexBoundsCheckILm5EiEESD_Lm5ESE_iEENS8_INS9_ISB_SC_Lm4ESE_iEESI_SC_Lm5ESE_iEESJ_iiiiiiiii.uses_flat_scratch, 0
	.set _ZN2at6native12_GLOBAL__N_143conv_depthwise3d_cuda_backward_input_kernelIN3c108BFloat16EfLi3ELi3ELi3ELi1ELi1ELi1ELin1ELin1ELin1EEEvN5torch10headeronly6detail27GenericPackedTensorAccessorINS7_14TensorAccessorINS3_8ArrayRefIlEEKT_Lm4ENS6_16DefaultPtrTraitsEiEENS_6detail16IndexBoundsCheckILm5EiEESD_Lm5ESE_iEENS8_INS9_ISB_SC_Lm4ESE_iEESI_SC_Lm5ESE_iEESJ_iiiiiiiii.has_dyn_sized_stack, 0
	.set _ZN2at6native12_GLOBAL__N_143conv_depthwise3d_cuda_backward_input_kernelIN3c108BFloat16EfLi3ELi3ELi3ELi1ELi1ELi1ELin1ELin1ELin1EEEvN5torch10headeronly6detail27GenericPackedTensorAccessorINS7_14TensorAccessorINS3_8ArrayRefIlEEKT_Lm4ENS6_16DefaultPtrTraitsEiEENS_6detail16IndexBoundsCheckILm5EiEESD_Lm5ESE_iEENS8_INS9_ISB_SC_Lm4ESE_iEESI_SC_Lm5ESE_iEESJ_iiiiiiiii.has_recursion, 0
	.set _ZN2at6native12_GLOBAL__N_143conv_depthwise3d_cuda_backward_input_kernelIN3c108BFloat16EfLi3ELi3ELi3ELi1ELi1ELi1ELin1ELin1ELin1EEEvN5torch10headeronly6detail27GenericPackedTensorAccessorINS7_14TensorAccessorINS3_8ArrayRefIlEEKT_Lm4ENS6_16DefaultPtrTraitsEiEENS_6detail16IndexBoundsCheckILm5EiEESD_Lm5ESE_iEENS8_INS9_ISB_SC_Lm4ESE_iEESI_SC_Lm5ESE_iEESJ_iiiiiiiii.has_indirect_call, 0
	.section	.AMDGPU.csdata,"",@progbits
; Kernel info:
; codeLenInByte = 6764
; TotalNumSgprs: 106
; NumVgprs: 128
; NumAgprs: 0
; TotalNumVgprs: 128
; ScratchSize: 28
; MemoryBound: 0
; FloatMode: 240
; IeeeMode: 1
; LDSByteSize: 0 bytes/workgroup (compile time only)
; SGPRBlocks: 13
; VGPRBlocks: 15
; NumSGPRsForWavesPerEU: 106
; NumVGPRsForWavesPerEU: 128
; AccumOffset: 128
; Occupancy: 4
; WaveLimiterHint : 0
; COMPUTE_PGM_RSRC2:SCRATCH_EN: 1
; COMPUTE_PGM_RSRC2:USER_SGPR: 2
; COMPUTE_PGM_RSRC2:TRAP_HANDLER: 0
; COMPUTE_PGM_RSRC2:TGID_X_EN: 1
; COMPUTE_PGM_RSRC2:TGID_Y_EN: 0
; COMPUTE_PGM_RSRC2:TGID_Z_EN: 0
; COMPUTE_PGM_RSRC2:TIDIG_COMP_CNT: 0
; COMPUTE_PGM_RSRC3_GFX90A:ACCUM_OFFSET: 31
; COMPUTE_PGM_RSRC3_GFX90A:TG_SPLIT: 0
	.section	.text._ZN2at6native12_GLOBAL__N_143conv_depthwise3d_cuda_backward_input_kernelIN3c108BFloat16EfLi3ELi3ELi3ELin1ELin1ELin1ELi1ELi1ELi1EEEvN5torch10headeronly6detail27GenericPackedTensorAccessorINS7_14TensorAccessorINS3_8ArrayRefIlEEKT_Lm4ENS6_16DefaultPtrTraitsEiEENS_6detail16IndexBoundsCheckILm5EiEESD_Lm5ESE_iEENS8_INS9_ISB_SC_Lm4ESE_iEESI_SC_Lm5ESE_iEESJ_iiiiiiiii,"axG",@progbits,_ZN2at6native12_GLOBAL__N_143conv_depthwise3d_cuda_backward_input_kernelIN3c108BFloat16EfLi3ELi3ELi3ELin1ELin1ELin1ELi1ELi1ELi1EEEvN5torch10headeronly6detail27GenericPackedTensorAccessorINS7_14TensorAccessorINS3_8ArrayRefIlEEKT_Lm4ENS6_16DefaultPtrTraitsEiEENS_6detail16IndexBoundsCheckILm5EiEESD_Lm5ESE_iEENS8_INS9_ISB_SC_Lm4ESE_iEESI_SC_Lm5ESE_iEESJ_iiiiiiiii,comdat
	.globl	_ZN2at6native12_GLOBAL__N_143conv_depthwise3d_cuda_backward_input_kernelIN3c108BFloat16EfLi3ELi3ELi3ELin1ELin1ELin1ELi1ELi1ELi1EEEvN5torch10headeronly6detail27GenericPackedTensorAccessorINS7_14TensorAccessorINS3_8ArrayRefIlEEKT_Lm4ENS6_16DefaultPtrTraitsEiEENS_6detail16IndexBoundsCheckILm5EiEESD_Lm5ESE_iEENS8_INS9_ISB_SC_Lm4ESE_iEESI_SC_Lm5ESE_iEESJ_iiiiiiiii ; -- Begin function _ZN2at6native12_GLOBAL__N_143conv_depthwise3d_cuda_backward_input_kernelIN3c108BFloat16EfLi3ELi3ELi3ELin1ELin1ELin1ELi1ELi1ELi1EEEvN5torch10headeronly6detail27GenericPackedTensorAccessorINS7_14TensorAccessorINS3_8ArrayRefIlEEKT_Lm4ENS6_16DefaultPtrTraitsEiEENS_6detail16IndexBoundsCheckILm5EiEESD_Lm5ESE_iEENS8_INS9_ISB_SC_Lm4ESE_iEESI_SC_Lm5ESE_iEESJ_iiiiiiiii
	.p2align	8
	.type	_ZN2at6native12_GLOBAL__N_143conv_depthwise3d_cuda_backward_input_kernelIN3c108BFloat16EfLi3ELi3ELi3ELin1ELin1ELin1ELi1ELi1ELi1EEEvN5torch10headeronly6detail27GenericPackedTensorAccessorINS7_14TensorAccessorINS3_8ArrayRefIlEEKT_Lm4ENS6_16DefaultPtrTraitsEiEENS_6detail16IndexBoundsCheckILm5EiEESD_Lm5ESE_iEENS8_INS9_ISB_SC_Lm4ESE_iEESI_SC_Lm5ESE_iEESJ_iiiiiiiii,@function
_ZN2at6native12_GLOBAL__N_143conv_depthwise3d_cuda_backward_input_kernelIN3c108BFloat16EfLi3ELi3ELi3ELin1ELin1ELin1ELi1ELi1ELi1EEEvN5torch10headeronly6detail27GenericPackedTensorAccessorINS7_14TensorAccessorINS3_8ArrayRefIlEEKT_Lm4ENS6_16DefaultPtrTraitsEiEENS_6detail16IndexBoundsCheckILm5EiEESD_Lm5ESE_iEENS8_INS9_ISB_SC_Lm4ESE_iEESI_SC_Lm5ESE_iEESJ_iiiiiiiii: ; @_ZN2at6native12_GLOBAL__N_143conv_depthwise3d_cuda_backward_input_kernelIN3c108BFloat16EfLi3ELi3ELi3ELin1ELin1ELin1ELi1ELi1ELi1EEEvN5torch10headeronly6detail27GenericPackedTensorAccessorINS7_14TensorAccessorINS3_8ArrayRefIlEEKT_Lm4ENS6_16DefaultPtrTraitsEiEENS_6detail16IndexBoundsCheckILm5EiEESD_Lm5ESE_iEENS8_INS9_ISB_SC_Lm4ESE_iEESI_SC_Lm5ESE_iEESJ_iiiiiiiii
; %bb.0:
	s_load_dwordx4 s[12:15], s[0:1], 0x38
	s_load_dwordx2 s[28:29], s[0:1], 0x48
	s_load_dword s4, s[0:1], 0xc4
	v_mov_b32_e32 v3, s2
	v_mov_b32_e32 v1, 0
	s_waitcnt lgkmcnt(0)
	s_abs_i32 s33, s13
	v_cvt_f32_u32_e32 v2, s33
	s_add_u32 s2, s0, 0xb8
	s_mul_i32 s30, s29, s12
	s_addc_u32 s3, s1, 0
	v_rcp_iflag_f32_e32 v2, v2
	s_and_b32 s4, s4, 0xffff
	s_ashr_i32 s31, s30, 31
	v_mad_u64_u32 v[0:1], s[6:7], s4, v3, v[0:1]
	v_mul_f32_e32 v2, 0x4f7ffffe, v2
	v_cvt_u32_f32_e32 v2, v2
	v_cmp_gt_i64_e32 vcc, s[30:31], v[0:1]
	v_readfirstlane_b32 s5, v2
	s_and_saveexec_b64 s[6:7], vcc
	s_cbranch_execz .LBB29_62
; %bb.1:
	s_load_dwordx4 s[16:19], s[0:1], 0xc
	s_load_dwordx2 s[6:7], s[0:1], 0x0
	s_sub_i32 s8, 0, s33
                                        ; implicit-def: $vgpr127 : SGPR spill to VGPR lane
	s_mul_i32 s9, s8, s5
	s_mul_hi_u32 s9, s5, s9
	s_add_i32 s5, s5, s9
	s_waitcnt lgkmcnt(0)
	v_writelane_b32 v127, s6, 0
	s_ashr_i32 s12, s13, 31
                                        ; kill: killed $sgpr2 killed $sgpr3
	s_load_dwordx2 s[38:39], s[0:1], 0xac
	v_writelane_b32 v127, s7, 1
	s_abs_i32 s7, s16
	s_mul_hi_u32 s5, s7, s5
	s_mul_i32 s9, s5, s33
	s_ashr_i32 s6, s16, 31
	s_sub_i32 s7, s7, s9
	s_xor_b32 s6, s6, s12
	s_add_i32 s9, s5, 1
	s_sub_i32 s10, s7, s33
	s_cmp_ge_u32 s7, s33
	s_cselect_b32 s5, s9, s5
	s_cselect_b32 s7, s10, s7
	s_add_i32 s9, s5, 1
	s_cmp_ge_u32 s7, s33
	s_cselect_b32 s5, s9, s5
	s_xor_b32 s5, s5, s6
	s_sub_i32 s16, s5, s6
	s_cmp_gt_i32 s16, 0
	s_load_dword s5, s[2:3], 0x0
	s_load_dwordx4 s[20:23], s[0:1], 0x9c
	s_load_dword s6, s[0:1], 0x7c
	s_cselect_b64 s[2:3], -1, 0
	s_abs_i32 s97, s28
	v_cvt_f32_u32_e32 v3, s97
	s_load_dwordx4 s[24:27], s[0:1], 0x50
	s_waitcnt lgkmcnt(0)
	v_writelane_b32 v127, s6, 2
	s_load_dwordx2 s[6:7], s[0:1], 0x60
	v_rcp_iflag_f32_e32 v3, v3
	s_load_dwordx2 s[40:41], s[0:1], 0x1c
	s_load_dwordx2 s[42:43], s[0:1], 0x30
                                        ; kill: killed $sgpr0 killed $sgpr1
	s_lshl_b32 s0, s39, 1
	s_abs_i32 s96, s15
	v_mul_f32_e32 v3, 0x4f7ffffe, v3
	v_cvt_u32_f32_e32 v3, v3
	s_waitcnt lgkmcnt(0)
	v_writelane_b32 v127, s6, 3
	v_cvt_f32_u32_e32 v4, s96
	s_abs_i32 s44, s14
	v_writelane_b32 v127, s7, 4
	v_writelane_b32 v127, s0, 5
	s_sub_i32 s0, 0, s97
	v_mul_lo_u32 v5, s0, v3
	v_mul_hi_u32 v5, v3, v5
	v_add_u32_e32 v3, v3, v5
	scratch_store_dword off, v3, off        ; 4-byte Folded Spill
	v_cvt_f32_u32_e32 v3, s44
	v_rcp_iflag_f32_e32 v4, v4
	s_sub_i32 s0, 0, s96
	s_mov_b32 s35, 0
	v_rcp_iflag_f32_e32 v3, v3
	v_mul_f32_e32 v4, 0x4f7ffffe, v4
	v_cvt_u32_f32_e32 v4, v4
	s_mul_i32 s34, s5, s4
	v_mul_f32_e32 v3, 0x4f7ffffe, v3
	v_cvt_u32_f32_e32 v3, v3
	v_mul_lo_u32 v5, s0, v4
	v_mul_hi_u32 v5, v4, v5
	v_add_u32_e32 v4, v4, v5
	s_sub_i32 s0, 0, s44
	scratch_store_dword off, v4, off offset:4 ; 4-byte Folded Spill
	v_mul_lo_u32 v4, s0, v3
	v_mul_hi_u32 v4, v3, v4
	v_add_u32_e32 v66, v3, v4
	v_mul_lo_u32 v3, s8, v2
	v_mul_hi_u32 v3, v2, v3
	v_add_u32_e32 v67, v2, v3
	v_cndmask_b32_e64 v2, 0, 1, s[2:3]
	s_lshl_b32 s99, s38, 1
	s_lshl_b32 s36, s23, 1
	s_ashr_i32 s37, s28, 31
	s_ashr_i32 s45, s15, 31
	;; [unrolled: 1-line block ×3, first 2 shown]
	s_mov_b64 s[46:47], 0
	v_cmp_ne_u32_e64 s[0:1], 1, v2
	s_branch .LBB29_4
.LBB29_2:                               ;   in Loop: Header=BB29_4 Depth=1
	s_or_b64 exec, exec, s[92:93]
.LBB29_3:                               ;   in Loop: Header=BB29_4 Depth=1
	v_bfe_u32 v2, v74, 16, 1
	s_movk_i32 s2, 0x7fff
	v_add3_u32 v2, v74, v2, s2
	v_cmp_o_f32_e32 vcc, v74, v74
	v_mov_b32_e32 v3, 0x7fc0
	v_mul_lo_u32 v4, s24, v71
	v_cndmask_b32_sdwa v6, v3, v2, vcc dst_sel:DWORD dst_unused:UNUSED_PAD src0_sel:DWORD src1_sel:WORD_1
	v_mul_lo_u32 v2, v72, s29
	v_ashrrev_i32_e32 v3, 31, v2
	v_lshl_add_u64 v[2:3], v[2:3], 1, s[42:43]
	v_ashrrev_i32_e32 v5, 31, v4
	v_lshl_add_u64 v[2:3], v[4:5], 1, v[2:3]
	v_mul_lo_u32 v4, s25, v70
	v_ashrrev_i32_e32 v5, 31, v4
	v_lshl_add_u64 v[2:3], v[4:5], 1, v[2:3]
	v_mul_lo_u32 v4, s26, v69
	;; [unrolled: 3-line block ×3, first 2 shown]
	v_lshl_add_u64 v[0:1], v[0:1], 0, s[34:35]
	v_ashrrev_i32_e32 v5, 31, v4
	v_cmp_le_i64_e32 vcc, s[30:31], v[0:1]
	v_lshl_add_u64 v[2:3], v[4:5], 1, v[2:3]
	s_or_b64 s[46:47], vcc, s[46:47]
	global_store_short v[2:3], v6, off
	s_andn2_b64 exec, exec, s[46:47]
	s_cbranch_execz .LBB29_62
.LBB29_4:                               ; =>This Loop Header: Depth=1
                                        ;     Child Loop BB29_7 Depth 2
	scratch_load_dword v4, off, off         ; 4-byte Folded Reload
	v_sub_u32_e32 v3, 0, v0
	v_max_i32_e32 v3, v0, v3
	v_ashrrev_i32_e32 v2, 31, v0
	v_xor_b32_e32 v2, s37, v2
	s_waitcnt vmcnt(0)
	v_mul_hi_u32 v4, v3, v4
	v_mul_lo_u32 v5, v4, s97
	v_sub_u32_e32 v3, v3, v5
	v_add_u32_e32 v5, 1, v4
	v_cmp_le_u32_e32 vcc, s97, v3
	s_nop 1
	v_cndmask_b32_e32 v4, v4, v5, vcc
	v_subrev_u32_e32 v5, s97, v3
	v_cndmask_b32_e32 v3, v3, v5, vcc
	v_add_u32_e32 v5, 1, v4
	v_cmp_le_u32_e32 vcc, s97, v3
	s_nop 1
	v_cndmask_b32_e32 v3, v4, v5, vcc
	scratch_load_dword v5, off, off offset:4 ; 4-byte Folded Reload
	v_xor_b32_e32 v3, v3, v2
	v_sub_u32_e32 v2, v3, v2
	v_sub_u32_e32 v4, 0, v2
	v_max_i32_e32 v4, v2, v4
	v_mul_lo_u32 v3, v2, s28
	v_sub_u32_e32 v68, v0, v3
	v_ashrrev_i32_e32 v3, 31, v2
	v_xor_b32_e32 v3, s45, v3
	s_waitcnt vmcnt(0)
	v_mul_hi_u32 v5, v4, v5
	v_mul_lo_u32 v6, v5, s96
	v_sub_u32_e32 v4, v4, v6
	v_add_u32_e32 v6, 1, v5
	v_cmp_le_u32_e32 vcc, s96, v4
	s_nop 1
	v_cndmask_b32_e32 v5, v5, v6, vcc
	v_subrev_u32_e32 v6, s96, v4
	v_cndmask_b32_e32 v4, v4, v6, vcc
	v_add_u32_e32 v6, 1, v5
	v_cmp_le_u32_e32 vcc, s96, v4
	s_nop 1
	v_cndmask_b32_e32 v4, v5, v6, vcc
	v_xor_b32_e32 v4, v4, v3
	v_sub_u32_e32 v3, v4, v3
	v_mul_lo_u32 v4, v3, s15
	v_sub_u32_e32 v69, v2, v4
	v_sub_u32_e32 v4, 0, v3
	v_max_i32_e32 v4, v3, v4
	v_mul_hi_u32 v5, v4, v66
	v_mul_lo_u32 v6, v5, s44
	v_sub_u32_e32 v4, v4, v6
	v_add_u32_e32 v6, 1, v5
	v_cmp_le_u32_e32 vcc, s44, v4
	v_ashrrev_i32_e32 v2, 31, v3
	v_xor_b32_e32 v2, s98, v2
	v_cndmask_b32_e32 v5, v5, v6, vcc
	v_subrev_u32_e32 v6, s44, v4
	v_cndmask_b32_e32 v4, v4, v6, vcc
	v_add_u32_e32 v6, 1, v5
	v_cmp_le_u32_e32 vcc, s44, v4
	s_nop 1
	v_cndmask_b32_e32 v4, v5, v6, vcc
	v_xor_b32_e32 v4, v4, v2
	v_sub_u32_e32 v2, v4, v2
	v_mul_lo_u32 v4, v2, s14
	v_sub_u32_e32 v70, v3, v4
	v_sub_u32_e32 v4, 0, v2
	v_max_i32_e32 v4, v2, v4
	v_mul_hi_u32 v5, v4, v67
	v_mul_lo_u32 v6, v5, s33
	v_sub_u32_e32 v4, v4, v6
	v_add_u32_e32 v6, 1, v5
	v_cmp_le_u32_e32 vcc, s33, v4
	v_ashrrev_i32_e32 v3, 31, v2
	v_xor_b32_e32 v3, s12, v3
	v_cndmask_b32_e32 v5, v5, v6, vcc
	v_subrev_u32_e32 v6, s33, v4
	v_cndmask_b32_e32 v4, v4, v6, vcc
	v_add_u32_e32 v6, 1, v5
	v_cmp_le_u32_e32 vcc, s33, v4
	s_nop 1
	v_cndmask_b32_e32 v4, v5, v6, vcc
	v_xor_b32_e32 v4, v4, v3
	v_sub_u32_e32 v72, v4, v3
	v_mul_lo_u32 v3, v72, s13
	s_and_b64 vcc, exec, s[0:1]
	v_sub_u32_e32 v71, v2, v3
	s_cbranch_vccnz .LBB29_61
; %bb.5:                                ;   in Loop: Header=BB29_4 Depth=1
	v_add_u32_e32 v3, s21, v69
	v_add_u32_e32 v37, s22, v68
	;; [unrolled: 1-line block ×3, first 2 shown]
	v_or_b32_e32 v8, v37, v3
	v_cmp_gt_i32_e64 s[2:3], s18, v3
	v_or_b32_e32 v11, v8, v2
	v_cmp_gt_i32_e64 s[6:7], s19, v37
	v_subrev_u32_e32 v43, s39, v37
	v_cmp_lt_i32_e64 s[4:5], -1, v11
	s_and_b64 s[76:77], s[6:7], s[2:3]
	v_or_b32_e32 v13, v43, v3
	v_cmp_gt_i32_e32 vcc, s17, v2
	s_and_b64 s[4:5], s[76:77], s[4:5]
	v_or_b32_e32 v15, v13, v2
	v_cmp_gt_i32_e64 s[8:9], s19, v43
	s_and_b64 s[48:49], s[4:5], vcc
	v_cmp_lt_i32_e64 s[4:5], -1, v15
	s_and_b64 s[78:79], s[8:9], s[2:3]
	s_and_b64 s[4:5], s[78:79], s[4:5]
	s_and_b64 s[50:51], s[4:5], vcc
	v_readlane_b32 s4, v127, 5
	v_subrev_u32_e32 v7, s38, v3
	v_or_b32_e32 v6, v37, v7
	v_subrev_u32_e32 v58, s4, v37
	v_or_b32_e32 v17, v58, v3
	v_or_b32_e32 v19, v17, v2
	v_cmp_gt_i32_e64 s[10:11], s19, v58
	v_cmp_lt_i32_e64 s[4:5], -1, v19
	s_and_b64 s[80:81], s[10:11], s[2:3]
	s_and_b64 s[2:3], s[80:81], s[4:5]
	s_and_b64 s[52:53], s[2:3], vcc
	v_cmp_gt_i32_e64 s[2:3], s18, v7
	v_or_b32_e32 v20, v6, v2
	v_or_b32_e32 v12, v43, v7
	v_cmp_lt_i32_e64 s[4:5], -1, v20
	s_and_b64 s[82:83], s[6:7], s[2:3]
	s_and_b64 s[4:5], s[82:83], s[4:5]
	v_or_b32_e32 v21, v12, v2
	v_or_b32_e32 v16, v58, v7
	s_and_b64 s[54:55], s[4:5], vcc
	v_cmp_lt_i32_e64 s[4:5], -1, v21
	s_and_b64 s[84:85], s[8:9], s[2:3]
	s_and_b64 s[4:5], s[84:85], s[4:5]
	v_or_b32_e32 v22, v16, v2
	v_subrev_u32_e32 v5, s99, v3
	s_and_b64 s[56:57], s[4:5], vcc
	v_cmp_lt_i32_e64 s[4:5], -1, v22
	s_and_b64 s[86:87], s[10:11], s[2:3]
	v_or_b32_e32 v4, v37, v5
	s_and_b64 s[2:3], s[86:87], s[4:5]
	s_and_b64 s[58:59], s[2:3], vcc
	v_cmp_gt_i32_e64 s[2:3], s18, v5
	v_or_b32_e32 v23, v4, v2
	v_or_b32_e32 v11, v43, v5
	v_cmp_lt_i32_e64 s[4:5], -1, v23
	s_and_b64 s[88:89], s[6:7], s[2:3]
	s_and_b64 s[4:5], s[88:89], s[4:5]
	v_or_b32_e32 v24, v11, v2
	v_or_b32_e32 v15, v58, v5
	s_and_b64 s[6:7], s[4:5], vcc
	v_cmp_lt_i32_e64 s[4:5], -1, v24
	s_and_b64 s[90:91], s[8:9], s[2:3]
	s_and_b64 s[4:5], s[90:91], s[4:5]
	v_or_b32_e32 v25, v15, v2
	v_subrev_u32_e32 v9, s23, v2
	s_and_b64 s[8:9], s[4:5], vcc
	v_cmp_lt_i32_e64 s[4:5], -1, v25
	s_and_b64 s[92:93], s[10:11], s[2:3]
	v_or_b32_e32 v10, v8, v9
	s_and_b64 s[2:3], s[92:93], s[4:5]
	s_and_b64 s[4:5], s[2:3], vcc
	v_cmp_lt_i32_e64 s[2:3], -1, v10
	v_or_b32_e32 v14, v13, v9
	v_cmp_gt_i32_e32 vcc, s17, v9
	s_and_b64 s[2:3], s[76:77], s[2:3]
	s_and_b64 s[10:11], s[2:3], vcc
	v_cmp_lt_i32_e64 s[2:3], -1, v14
	v_or_b32_e32 v18, v17, v9
	s_and_b64 s[2:3], s[78:79], s[2:3]
	s_and_b64 s[60:61], s[2:3], vcc
	v_cmp_lt_i32_e64 s[2:3], -1, v18
	v_or_b32_e32 v19, v6, v9
	;; [unrolled: 4-line block ×7, first 2 shown]
	s_and_b64 s[2:3], s[90:91], s[2:3]
	s_and_b64 s[72:73], s[2:3], vcc
	v_cmp_lt_i32_e64 s[2:3], -1, v24
	v_subrev_u32_e32 v19, s36, v2
	s_and_b64 s[2:3], s[92:93], s[2:3]
	v_or_b32_e32 v8, v8, v19
	s_and_b64 s[74:75], s[2:3], vcc
	v_cmp_lt_i32_e32 vcc, -1, v8
	v_or_b32_e32 v8, v13, v19
	s_and_b64 s[76:77], s[76:77], vcc
	v_cmp_lt_i32_e32 vcc, -1, v8
	;; [unrolled: 3-line block ×7, first 2 shown]
	v_or_b32_e32 v4, v11, v19
	v_mul_lo_u32 v11, v2, s18
	v_add_u32_e32 v2, v3, v11
	v_add_u32_e32 v8, v7, v11
	v_add_u32_e32 v11, v5, v11
	v_mul_lo_u32 v11, v11, s19
	v_mul_lo_u32 v9, v9, s18
	v_add_u32_e32 v14, v37, v11
	v_add_u32_e32 v16, v43, v11
	;; [unrolled: 1-line block ×4, first 2 shown]
	v_mul_lo_u32 v11, v11, s19
	v_add_u32_e32 v20, v37, v11
	v_add_u32_e32 v22, v43, v11
	;; [unrolled: 1-line block ×4, first 2 shown]
	v_mul_lo_u32 v11, v11, s19
	v_mul_lo_u32 v73, v71, s16
	v_readlane_b32 s2, v127, 2
	v_add_u32_e32 v26, v37, v11
	v_add_u32_e32 v28, v43, v11
	;; [unrolled: 1-line block ×3, first 2 shown]
	v_mul_lo_u32 v11, v19, s18
	v_mul_lo_u32 v50, s2, v73
	v_add_u32_e32 v3, v3, v11
	v_readlane_b32 s94, v127, 3
	v_mul_lo_u32 v39, v3, s19
	v_add_u32_e32 v3, v7, v11
	v_ashrrev_i32_e32 v51, 31, v50
	v_readlane_b32 s95, v127, 4
	v_mul_lo_u32 v52, s40, v72
	v_or_b32_e32 v13, v15, v19
	v_add_u32_e32 v9, v5, v9
	v_mul_lo_u32 v45, v3, s19
	v_add_u32_e32 v3, v5, v11
	v_lshl_add_u64 v[50:51], v[50:51], 1, s[94:95]
	v_readlane_b32 s94, v127, 0
	s_and_b64 s[88:89], s[88:89], vcc
	v_cmp_lt_i32_e32 vcc, -1, v4
	v_mul_lo_u32 v6, v2, s19
	v_mul_lo_u32 v12, v8, s19
	;; [unrolled: 1-line block ×4, first 2 shown]
	v_cmp_lt_i32_e64 s[2:3], -1, v13
	v_ashrrev_i32_e32 v53, 31, v52
	v_readlane_b32 s95, v127, 1
	s_and_b64 s[90:91], s[90:91], vcc
	v_add_u32_e32 v2, v37, v6
	v_add_u32_e32 v4, v43, v6
	;; [unrolled: 1-line block ×13, first 2 shown]
	v_cmp_gt_i32_e32 vcc, s17, v19
	v_add_u32_e32 v46, v58, v9
	v_add_u32_e32 v48, v43, v59
	v_lshl_add_u64 v[52:53], v[52:53], 1, s[94:95]
	v_add_u32_e32 v54, v37, v39
	v_add_u32_e32 v56, v43, v45
	s_and_b64 s[2:3], s[92:93], s[2:3]
	v_add_u32_e32 v58, v58, v59
	s_mul_i32 s94, s41, s16
	v_ashrrev_i32_e32 v3, 31, v2
	v_ashrrev_i32_e32 v5, 31, v4
	;; [unrolled: 1-line block ×18, first 2 shown]
	s_and_b64 s[76:77], s[76:77], vcc
	v_ashrrev_i32_e32 v55, 31, v54
	s_and_b64 s[78:79], s[78:79], vcc
	v_ashrrev_i32_e32 v37, 31, v36
	;; [unrolled: 2-line block ×9, first 2 shown]
	s_mov_b64 s[92:93], 0
	v_add_u32_e32 v75, s16, v73
	v_mov_b32_e32 v74, 0
	v_mul_lo_u32 v60, s94, v71
	s_branch .LBB29_7
.LBB29_6:                               ;   in Loop: Header=BB29_7 Depth=2
	s_or_b64 exec, exec, s[94:95]
	s_waitcnt vmcnt(26)
	v_lshlrev_b32_e32 v62, 16, v76
	v_fmac_f32_e32 v74, v61, v62
	s_waitcnt vmcnt(25)
	v_lshlrev_b32_e32 v61, 16, v78
	v_fmac_f32_e32 v74, v79, v61
	;; [unrolled: 3-line block ×25, first 2 shown]
	s_waitcnt vmcnt(1)
	v_lshlrev_b32_e32 v61, 16, v126
	v_add_u32_e32 v73, 1, v73
	v_fmac_f32_e32 v74, v64, v61
	s_waitcnt vmcnt(0)
	v_lshlrev_b32_e32 v61, 16, v65
	v_cmp_ge_i32_e32 vcc, v73, v75
	v_fmac_f32_e32 v74, v125, v61
	v_lshl_add_u64 v[50:51], v[50:51], 0, 54
	s_or_b64 s[92:93], vcc, s[92:93]
	v_add_u32_e32 v60, s41, v60
	s_andn2_b64 exec, exec, s[92:93]
	s_cbranch_execz .LBB29_2
.LBB29_7:                               ;   Parent Loop BB29_4 Depth=1
                                        ; =>  This Inner Loop Header: Depth=2
	global_load_ushort v76, v[50:51], off
	v_ashrrev_i32_e32 v61, 31, v60
	v_lshl_add_u64 v[62:63], v[60:61], 1, v[52:53]
	v_mov_b32_e32 v61, 0
	s_and_saveexec_b64 s[94:95], s[48:49]
	s_cbranch_execz .LBB29_9
; %bb.8:                                ;   in Loop: Header=BB29_7 Depth=2
	v_lshl_add_u64 v[64:65], v[2:3], 1, v[62:63]
	global_load_ushort v61, v[64:65], off
	s_waitcnt vmcnt(0)
	v_lshlrev_b32_e32 v61, 16, v61
.LBB29_9:                               ;   in Loop: Header=BB29_7 Depth=2
	s_or_b64 exec, exec, s[94:95]
	global_load_ushort v78, v[50:51], off offset:2
	v_mov_b32_e32 v77, 0
	v_mov_b32_e32 v79, 0
	s_and_saveexec_b64 s[94:95], s[50:51]
	s_cbranch_execz .LBB29_11
; %bb.10:                               ;   in Loop: Header=BB29_7 Depth=2
	v_lshl_add_u64 v[64:65], v[4:5], 1, v[62:63]
	global_load_ushort v64, v[64:65], off
	s_waitcnt vmcnt(0)
	v_lshlrev_b32_e32 v79, 16, v64
.LBB29_11:                              ;   in Loop: Header=BB29_7 Depth=2
	s_or_b64 exec, exec, s[94:95]
	global_load_ushort v80, v[50:51], off offset:4
	s_and_saveexec_b64 s[94:95], s[52:53]
	s_cbranch_execz .LBB29_13
; %bb.12:                               ;   in Loop: Header=BB29_7 Depth=2
	v_lshl_add_u64 v[64:65], v[6:7], 1, v[62:63]
	global_load_ushort v64, v[64:65], off
	s_waitcnt vmcnt(0)
	v_lshlrev_b32_e32 v77, 16, v64
.LBB29_13:                              ;   in Loop: Header=BB29_7 Depth=2
	s_or_b64 exec, exec, s[94:95]
	global_load_ushort v82, v[50:51], off offset:6
	v_mov_b32_e32 v81, 0
	v_mov_b32_e32 v83, 0
	s_and_saveexec_b64 s[94:95], s[54:55]
	s_cbranch_execz .LBB29_15
; %bb.14:                               ;   in Loop: Header=BB29_7 Depth=2
	v_lshl_add_u64 v[64:65], v[8:9], 1, v[62:63]
	global_load_ushort v64, v[64:65], off
	s_waitcnt vmcnt(0)
	v_lshlrev_b32_e32 v83, 16, v64
.LBB29_15:                              ;   in Loop: Header=BB29_7 Depth=2
	s_or_b64 exec, exec, s[94:95]
	global_load_ushort v84, v[50:51], off offset:8
	s_and_saveexec_b64 s[94:95], s[56:57]
	s_cbranch_execz .LBB29_17
; %bb.16:                               ;   in Loop: Header=BB29_7 Depth=2
	v_lshl_add_u64 v[64:65], v[10:11], 1, v[62:63]
	global_load_ushort v64, v[64:65], off
	s_waitcnt vmcnt(0)
	v_lshlrev_b32_e32 v81, 16, v64
.LBB29_17:                              ;   in Loop: Header=BB29_7 Depth=2
	;; [unrolled: 22-line block ×12, first 2 shown]
	s_or_b64 exec, exec, s[94:95]
	global_load_ushort v126, v[50:51], off offset:50
	v_mov_b32_e32 v125, 0
	v_mov_b32_e32 v64, 0
	s_and_saveexec_b64 s[94:95], s[90:91]
	s_cbranch_execz .LBB29_59
; %bb.58:                               ;   in Loop: Header=BB29_7 Depth=2
	v_lshl_add_u64 v[64:65], v[48:49], 1, v[62:63]
	global_load_ushort v64, v[64:65], off
	s_waitcnt vmcnt(0)
	v_lshlrev_b32_e32 v64, 16, v64
.LBB29_59:                              ;   in Loop: Header=BB29_7 Depth=2
	s_or_b64 exec, exec, s[94:95]
	global_load_ushort v65, v[50:51], off offset:52
	s_and_saveexec_b64 s[94:95], s[2:3]
	s_cbranch_execz .LBB29_6
; %bb.60:                               ;   in Loop: Header=BB29_7 Depth=2
	v_lshl_add_u64 v[62:63], v[58:59], 1, v[62:63]
	global_load_ushort v62, v[62:63], off
	s_waitcnt vmcnt(0)
	v_lshlrev_b32_e32 v125, 16, v62
	s_branch .LBB29_6
.LBB29_61:                              ;   in Loop: Header=BB29_4 Depth=1
	v_mov_b32_e32 v74, 0
	s_branch .LBB29_3
.LBB29_62:
	s_endpgm
	.section	.rodata,"a",@progbits
	.p2align	6, 0x0
	.amdhsa_kernel _ZN2at6native12_GLOBAL__N_143conv_depthwise3d_cuda_backward_input_kernelIN3c108BFloat16EfLi3ELi3ELi3ELin1ELin1ELin1ELi1ELi1ELi1EEEvN5torch10headeronly6detail27GenericPackedTensorAccessorINS7_14TensorAccessorINS3_8ArrayRefIlEEKT_Lm4ENS6_16DefaultPtrTraitsEiEENS_6detail16IndexBoundsCheckILm5EiEESD_Lm5ESE_iEENS8_INS9_ISB_SC_Lm4ESE_iEESI_SC_Lm5ESE_iEESJ_iiiiiiiii
		.amdhsa_group_segment_fixed_size 0
		.amdhsa_private_segment_fixed_size 12
		.amdhsa_kernarg_size 440
		.amdhsa_user_sgpr_count 2
		.amdhsa_user_sgpr_dispatch_ptr 0
		.amdhsa_user_sgpr_queue_ptr 0
		.amdhsa_user_sgpr_kernarg_segment_ptr 1
		.amdhsa_user_sgpr_dispatch_id 0
		.amdhsa_user_sgpr_kernarg_preload_length 0
		.amdhsa_user_sgpr_kernarg_preload_offset 0
		.amdhsa_user_sgpr_private_segment_size 0
		.amdhsa_uses_dynamic_stack 0
		.amdhsa_enable_private_segment 1
		.amdhsa_system_sgpr_workgroup_id_x 1
		.amdhsa_system_sgpr_workgroup_id_y 0
		.amdhsa_system_sgpr_workgroup_id_z 0
		.amdhsa_system_sgpr_workgroup_info 0
		.amdhsa_system_vgpr_workitem_id 0
		.amdhsa_next_free_vgpr 128
		.amdhsa_next_free_sgpr 100
		.amdhsa_accum_offset 128
		.amdhsa_reserve_vcc 1
		.amdhsa_float_round_mode_32 0
		.amdhsa_float_round_mode_16_64 0
		.amdhsa_float_denorm_mode_32 3
		.amdhsa_float_denorm_mode_16_64 3
		.amdhsa_dx10_clamp 1
		.amdhsa_ieee_mode 1
		.amdhsa_fp16_overflow 0
		.amdhsa_tg_split 0
		.amdhsa_exception_fp_ieee_invalid_op 0
		.amdhsa_exception_fp_denorm_src 0
		.amdhsa_exception_fp_ieee_div_zero 0
		.amdhsa_exception_fp_ieee_overflow 0
		.amdhsa_exception_fp_ieee_underflow 0
		.amdhsa_exception_fp_ieee_inexact 0
		.amdhsa_exception_int_div_zero 0
	.end_amdhsa_kernel
	.section	.text._ZN2at6native12_GLOBAL__N_143conv_depthwise3d_cuda_backward_input_kernelIN3c108BFloat16EfLi3ELi3ELi3ELin1ELin1ELin1ELi1ELi1ELi1EEEvN5torch10headeronly6detail27GenericPackedTensorAccessorINS7_14TensorAccessorINS3_8ArrayRefIlEEKT_Lm4ENS6_16DefaultPtrTraitsEiEENS_6detail16IndexBoundsCheckILm5EiEESD_Lm5ESE_iEENS8_INS9_ISB_SC_Lm4ESE_iEESI_SC_Lm5ESE_iEESJ_iiiiiiiii,"axG",@progbits,_ZN2at6native12_GLOBAL__N_143conv_depthwise3d_cuda_backward_input_kernelIN3c108BFloat16EfLi3ELi3ELi3ELin1ELin1ELin1ELi1ELi1ELi1EEEvN5torch10headeronly6detail27GenericPackedTensorAccessorINS7_14TensorAccessorINS3_8ArrayRefIlEEKT_Lm4ENS6_16DefaultPtrTraitsEiEENS_6detail16IndexBoundsCheckILm5EiEESD_Lm5ESE_iEENS8_INS9_ISB_SC_Lm4ESE_iEESI_SC_Lm5ESE_iEESJ_iiiiiiiii,comdat
.Lfunc_end29:
	.size	_ZN2at6native12_GLOBAL__N_143conv_depthwise3d_cuda_backward_input_kernelIN3c108BFloat16EfLi3ELi3ELi3ELin1ELin1ELin1ELi1ELi1ELi1EEEvN5torch10headeronly6detail27GenericPackedTensorAccessorINS7_14TensorAccessorINS3_8ArrayRefIlEEKT_Lm4ENS6_16DefaultPtrTraitsEiEENS_6detail16IndexBoundsCheckILm5EiEESD_Lm5ESE_iEENS8_INS9_ISB_SC_Lm4ESE_iEESI_SC_Lm5ESE_iEESJ_iiiiiiiii, .Lfunc_end29-_ZN2at6native12_GLOBAL__N_143conv_depthwise3d_cuda_backward_input_kernelIN3c108BFloat16EfLi3ELi3ELi3ELin1ELin1ELin1ELi1ELi1ELi1EEEvN5torch10headeronly6detail27GenericPackedTensorAccessorINS7_14TensorAccessorINS3_8ArrayRefIlEEKT_Lm4ENS6_16DefaultPtrTraitsEiEENS_6detail16IndexBoundsCheckILm5EiEESD_Lm5ESE_iEENS8_INS9_ISB_SC_Lm4ESE_iEESI_SC_Lm5ESE_iEESJ_iiiiiiiii
                                        ; -- End function
	.set _ZN2at6native12_GLOBAL__N_143conv_depthwise3d_cuda_backward_input_kernelIN3c108BFloat16EfLi3ELi3ELi3ELin1ELin1ELin1ELi1ELi1ELi1EEEvN5torch10headeronly6detail27GenericPackedTensorAccessorINS7_14TensorAccessorINS3_8ArrayRefIlEEKT_Lm4ENS6_16DefaultPtrTraitsEiEENS_6detail16IndexBoundsCheckILm5EiEESD_Lm5ESE_iEENS8_INS9_ISB_SC_Lm4ESE_iEESI_SC_Lm5ESE_iEESJ_iiiiiiiii.num_vgpr, 128
	.set _ZN2at6native12_GLOBAL__N_143conv_depthwise3d_cuda_backward_input_kernelIN3c108BFloat16EfLi3ELi3ELi3ELin1ELin1ELin1ELi1ELi1ELi1EEEvN5torch10headeronly6detail27GenericPackedTensorAccessorINS7_14TensorAccessorINS3_8ArrayRefIlEEKT_Lm4ENS6_16DefaultPtrTraitsEiEENS_6detail16IndexBoundsCheckILm5EiEESD_Lm5ESE_iEENS8_INS9_ISB_SC_Lm4ESE_iEESI_SC_Lm5ESE_iEESJ_iiiiiiiii.num_agpr, 0
	.set _ZN2at6native12_GLOBAL__N_143conv_depthwise3d_cuda_backward_input_kernelIN3c108BFloat16EfLi3ELi3ELi3ELin1ELin1ELin1ELi1ELi1ELi1EEEvN5torch10headeronly6detail27GenericPackedTensorAccessorINS7_14TensorAccessorINS3_8ArrayRefIlEEKT_Lm4ENS6_16DefaultPtrTraitsEiEENS_6detail16IndexBoundsCheckILm5EiEESD_Lm5ESE_iEENS8_INS9_ISB_SC_Lm4ESE_iEESI_SC_Lm5ESE_iEESJ_iiiiiiiii.numbered_sgpr, 100
	.set _ZN2at6native12_GLOBAL__N_143conv_depthwise3d_cuda_backward_input_kernelIN3c108BFloat16EfLi3ELi3ELi3ELin1ELin1ELin1ELi1ELi1ELi1EEEvN5torch10headeronly6detail27GenericPackedTensorAccessorINS7_14TensorAccessorINS3_8ArrayRefIlEEKT_Lm4ENS6_16DefaultPtrTraitsEiEENS_6detail16IndexBoundsCheckILm5EiEESD_Lm5ESE_iEENS8_INS9_ISB_SC_Lm4ESE_iEESI_SC_Lm5ESE_iEESJ_iiiiiiiii.num_named_barrier, 0
	.set _ZN2at6native12_GLOBAL__N_143conv_depthwise3d_cuda_backward_input_kernelIN3c108BFloat16EfLi3ELi3ELi3ELin1ELin1ELin1ELi1ELi1ELi1EEEvN5torch10headeronly6detail27GenericPackedTensorAccessorINS7_14TensorAccessorINS3_8ArrayRefIlEEKT_Lm4ENS6_16DefaultPtrTraitsEiEENS_6detail16IndexBoundsCheckILm5EiEESD_Lm5ESE_iEENS8_INS9_ISB_SC_Lm4ESE_iEESI_SC_Lm5ESE_iEESJ_iiiiiiiii.private_seg_size, 12
	.set _ZN2at6native12_GLOBAL__N_143conv_depthwise3d_cuda_backward_input_kernelIN3c108BFloat16EfLi3ELi3ELi3ELin1ELin1ELin1ELi1ELi1ELi1EEEvN5torch10headeronly6detail27GenericPackedTensorAccessorINS7_14TensorAccessorINS3_8ArrayRefIlEEKT_Lm4ENS6_16DefaultPtrTraitsEiEENS_6detail16IndexBoundsCheckILm5EiEESD_Lm5ESE_iEENS8_INS9_ISB_SC_Lm4ESE_iEESI_SC_Lm5ESE_iEESJ_iiiiiiiii.uses_vcc, 1
	.set _ZN2at6native12_GLOBAL__N_143conv_depthwise3d_cuda_backward_input_kernelIN3c108BFloat16EfLi3ELi3ELi3ELin1ELin1ELin1ELi1ELi1ELi1EEEvN5torch10headeronly6detail27GenericPackedTensorAccessorINS7_14TensorAccessorINS3_8ArrayRefIlEEKT_Lm4ENS6_16DefaultPtrTraitsEiEENS_6detail16IndexBoundsCheckILm5EiEESD_Lm5ESE_iEENS8_INS9_ISB_SC_Lm4ESE_iEESI_SC_Lm5ESE_iEESJ_iiiiiiiii.uses_flat_scratch, 0
	.set _ZN2at6native12_GLOBAL__N_143conv_depthwise3d_cuda_backward_input_kernelIN3c108BFloat16EfLi3ELi3ELi3ELin1ELin1ELin1ELi1ELi1ELi1EEEvN5torch10headeronly6detail27GenericPackedTensorAccessorINS7_14TensorAccessorINS3_8ArrayRefIlEEKT_Lm4ENS6_16DefaultPtrTraitsEiEENS_6detail16IndexBoundsCheckILm5EiEESD_Lm5ESE_iEENS8_INS9_ISB_SC_Lm4ESE_iEESI_SC_Lm5ESE_iEESJ_iiiiiiiii.has_dyn_sized_stack, 0
	.set _ZN2at6native12_GLOBAL__N_143conv_depthwise3d_cuda_backward_input_kernelIN3c108BFloat16EfLi3ELi3ELi3ELin1ELin1ELin1ELi1ELi1ELi1EEEvN5torch10headeronly6detail27GenericPackedTensorAccessorINS7_14TensorAccessorINS3_8ArrayRefIlEEKT_Lm4ENS6_16DefaultPtrTraitsEiEENS_6detail16IndexBoundsCheckILm5EiEESD_Lm5ESE_iEENS8_INS9_ISB_SC_Lm4ESE_iEESI_SC_Lm5ESE_iEESJ_iiiiiiiii.has_recursion, 0
	.set _ZN2at6native12_GLOBAL__N_143conv_depthwise3d_cuda_backward_input_kernelIN3c108BFloat16EfLi3ELi3ELi3ELin1ELin1ELin1ELi1ELi1ELi1EEEvN5torch10headeronly6detail27GenericPackedTensorAccessorINS7_14TensorAccessorINS3_8ArrayRefIlEEKT_Lm4ENS6_16DefaultPtrTraitsEiEENS_6detail16IndexBoundsCheckILm5EiEESD_Lm5ESE_iEENS8_INS9_ISB_SC_Lm4ESE_iEESI_SC_Lm5ESE_iEESJ_iiiiiiiii.has_indirect_call, 0
	.section	.AMDGPU.csdata,"",@progbits
; Kernel info:
; codeLenInByte = 3992
; TotalNumSgprs: 106
; NumVgprs: 128
; NumAgprs: 0
; TotalNumVgprs: 128
; ScratchSize: 12
; MemoryBound: 0
; FloatMode: 240
; IeeeMode: 1
; LDSByteSize: 0 bytes/workgroup (compile time only)
; SGPRBlocks: 13
; VGPRBlocks: 15
; NumSGPRsForWavesPerEU: 106
; NumVGPRsForWavesPerEU: 128
; AccumOffset: 128
; Occupancy: 4
; WaveLimiterHint : 0
; COMPUTE_PGM_RSRC2:SCRATCH_EN: 1
; COMPUTE_PGM_RSRC2:USER_SGPR: 2
; COMPUTE_PGM_RSRC2:TRAP_HANDLER: 0
; COMPUTE_PGM_RSRC2:TGID_X_EN: 1
; COMPUTE_PGM_RSRC2:TGID_Y_EN: 0
; COMPUTE_PGM_RSRC2:TGID_Z_EN: 0
; COMPUTE_PGM_RSRC2:TIDIG_COMP_CNT: 0
; COMPUTE_PGM_RSRC3_GFX90A:ACCUM_OFFSET: 31
; COMPUTE_PGM_RSRC3_GFX90A:TG_SPLIT: 0
	.section	.text._ZN2at6native12_GLOBAL__N_143conv_depthwise3d_cuda_backward_input_kernelIN3c108BFloat16EfLi3ELi3ELi3ELin1ELin1ELin1ELin1ELin1ELin1EEEvN5torch10headeronly6detail27GenericPackedTensorAccessorINS7_14TensorAccessorINS3_8ArrayRefIlEEKT_Lm4ENS6_16DefaultPtrTraitsEiEENS_6detail16IndexBoundsCheckILm5EiEESD_Lm5ESE_iEENS8_INS9_ISB_SC_Lm4ESE_iEESI_SC_Lm5ESE_iEESJ_iiiiiiiii,"axG",@progbits,_ZN2at6native12_GLOBAL__N_143conv_depthwise3d_cuda_backward_input_kernelIN3c108BFloat16EfLi3ELi3ELi3ELin1ELin1ELin1ELin1ELin1ELin1EEEvN5torch10headeronly6detail27GenericPackedTensorAccessorINS7_14TensorAccessorINS3_8ArrayRefIlEEKT_Lm4ENS6_16DefaultPtrTraitsEiEENS_6detail16IndexBoundsCheckILm5EiEESD_Lm5ESE_iEENS8_INS9_ISB_SC_Lm4ESE_iEESI_SC_Lm5ESE_iEESJ_iiiiiiiii,comdat
	.globl	_ZN2at6native12_GLOBAL__N_143conv_depthwise3d_cuda_backward_input_kernelIN3c108BFloat16EfLi3ELi3ELi3ELin1ELin1ELin1ELin1ELin1ELin1EEEvN5torch10headeronly6detail27GenericPackedTensorAccessorINS7_14TensorAccessorINS3_8ArrayRefIlEEKT_Lm4ENS6_16DefaultPtrTraitsEiEENS_6detail16IndexBoundsCheckILm5EiEESD_Lm5ESE_iEENS8_INS9_ISB_SC_Lm4ESE_iEESI_SC_Lm5ESE_iEESJ_iiiiiiiii ; -- Begin function _ZN2at6native12_GLOBAL__N_143conv_depthwise3d_cuda_backward_input_kernelIN3c108BFloat16EfLi3ELi3ELi3ELin1ELin1ELin1ELin1ELin1ELin1EEEvN5torch10headeronly6detail27GenericPackedTensorAccessorINS7_14TensorAccessorINS3_8ArrayRefIlEEKT_Lm4ENS6_16DefaultPtrTraitsEiEENS_6detail16IndexBoundsCheckILm5EiEESD_Lm5ESE_iEENS8_INS9_ISB_SC_Lm4ESE_iEESI_SC_Lm5ESE_iEESJ_iiiiiiiii
	.p2align	8
	.type	_ZN2at6native12_GLOBAL__N_143conv_depthwise3d_cuda_backward_input_kernelIN3c108BFloat16EfLi3ELi3ELi3ELin1ELin1ELin1ELin1ELin1ELin1EEEvN5torch10headeronly6detail27GenericPackedTensorAccessorINS7_14TensorAccessorINS3_8ArrayRefIlEEKT_Lm4ENS6_16DefaultPtrTraitsEiEENS_6detail16IndexBoundsCheckILm5EiEESD_Lm5ESE_iEENS8_INS9_ISB_SC_Lm4ESE_iEESI_SC_Lm5ESE_iEESJ_iiiiiiiii,@function
_ZN2at6native12_GLOBAL__N_143conv_depthwise3d_cuda_backward_input_kernelIN3c108BFloat16EfLi3ELi3ELi3ELin1ELin1ELin1ELin1ELin1ELin1EEEvN5torch10headeronly6detail27GenericPackedTensorAccessorINS7_14TensorAccessorINS3_8ArrayRefIlEEKT_Lm4ENS6_16DefaultPtrTraitsEiEENS_6detail16IndexBoundsCheckILm5EiEESD_Lm5ESE_iEENS8_INS9_ISB_SC_Lm4ESE_iEESI_SC_Lm5ESE_iEESJ_iiiiiiiii: ; @_ZN2at6native12_GLOBAL__N_143conv_depthwise3d_cuda_backward_input_kernelIN3c108BFloat16EfLi3ELi3ELi3ELin1ELin1ELin1ELin1ELin1ELin1EEEvN5torch10headeronly6detail27GenericPackedTensorAccessorINS7_14TensorAccessorINS3_8ArrayRefIlEEKT_Lm4ENS6_16DefaultPtrTraitsEiEENS_6detail16IndexBoundsCheckILm5EiEESD_Lm5ESE_iEENS8_INS9_ISB_SC_Lm4ESE_iEESI_SC_Lm5ESE_iEESJ_iiiiiiiii
; %bb.0:
	s_load_dwordx4 s[8:11], s[0:1], 0x38
	s_load_dwordx2 s[16:17], s[0:1], 0x48
	s_load_dword s4, s[0:1], 0xc4
                                        ; implicit-def: $vgpr126 : SGPR spill to VGPR lane
	v_mov_b32_e32 v3, s2
	v_mov_b32_e32 v1, 0
	s_waitcnt lgkmcnt(0)
	s_abs_i32 s3, s9
	v_cvt_f32_u32_e32 v2, s3
	v_writelane_b32 v126, s3, 0
	s_mov_b64 s[6:7], s[10:11]
	s_mov_b32 s5, s9
	v_rcp_iflag_f32_e32 v2, v2
	v_writelane_b32 v126, s4, 1
	s_mul_i32 s8, s17, s8
	s_add_u32 s2, s0, 0xb8
	v_mul_f32_e32 v2, 0x4f7ffffe, v2
	v_writelane_b32 v126, s5, 2
	v_cvt_u32_f32_e32 v2, v2
	v_writelane_b32 v126, s6, 3
	v_writelane_b32 v126, s7, 4
	s_addc_u32 s3, s1, 0
	s_and_b32 s4, s4, 0xffff
	s_ashr_i32 s9, s8, 31
	v_mad_u64_u32 v[0:1], s[6:7], s4, v3, v[0:1]
	v_writelane_b32 v126, s8, 5
	v_readfirstlane_b32 s5, v2
	s_nop 0
	v_writelane_b32 v126, s9, 6
	v_cmp_gt_i64_e32 vcc, s[8:9], v[0:1]
	s_and_saveexec_b64 s[6:7], vcc
	s_cbranch_execz .LBB30_63
; %bb.1:
	s_load_dwordx2 s[6:7], s[0:1], 0x0
	s_load_dwordx4 s[28:31], s[0:1], 0x50
	s_load_dwordx4 s[8:11], s[0:1], 0xc
	;; [unrolled: 1-line block ×3, first 2 shown]
	s_load_dwordx8 s[20:27], s[0:1], 0x90
	s_load_dword s18, s[0:1], 0xb0
                                        ; kill: killed $sgpr2 killed $sgpr3
                                        ; kill: killed $sgpr0 killed $sgpr1
	s_waitcnt lgkmcnt(0)
	v_writelane_b32 v126, s6, 7
	s_ashr_i32 s12, s13, 31
	s_nop 0
	v_writelane_b32 v126, s7, 8
	s_ashr_i32 s6, s8, 31
	v_writelane_b32 v126, s8, 9
	s_abs_i32 s7, s8
	s_xor_b32 s6, s6, s12
	v_writelane_b32 v126, s9, 10
	v_writelane_b32 v126, s10, 11
	v_writelane_b32 v126, s11, 12
	s_mov_b32 s13, 0
	v_readlane_b32 s11, v126, 0
	s_sub_i32 s8, 0, s11
	s_mul_i32 s9, s8, s5
	s_mul_hi_u32 s9, s5, s9
	s_add_i32 s5, s5, s9
	s_mul_hi_u32 s5, s7, s5
	s_mul_i32 s9, s5, s11
	s_sub_i32 s7, s7, s9
	s_add_i32 s9, s5, 1
	s_sub_i32 s10, s7, s11
	s_cmp_ge_u32 s7, s11
	s_cselect_b32 s5, s9, s5
	s_cselect_b32 s7, s10, s7
	s_add_i32 s9, s5, 1
	s_cmp_ge_u32 s7, s11
	s_cselect_b32 s5, s9, s5
	s_xor_b32 s5, s5, s6
	s_sub_i32 s6, s5, s6
	s_load_dword s5, s[2:3], 0x0
	s_load_dword s7, s[0:1], 0x7c
	s_load_dwordx2 s[10:11], s[0:1], 0x1c
	v_writelane_b32 v126, s12, 13
	s_cmp_gt_i32 s6, 0
	s_cselect_b64 s[2:3], -1, 0
	s_waitcnt lgkmcnt(0)
	v_writelane_b32 v126, s7, 14
	v_writelane_b32 v126, s10, 15
	s_mul_i32 s12, s5, s4
	s_abs_i32 s4, s14
	v_writelane_b32 v126, s11, 16
	s_load_dwordx2 s[10:11], s[0:1], 0x30
	s_abs_i32 s33, s22
	s_waitcnt lgkmcnt(0)
	v_writelane_b32 v126, s10, 17
	s_nop 1
	v_writelane_b32 v126, s11, 18
	s_load_dwordx2 s[10:11], s[0:1], 0x60
	v_writelane_b32 v126, s6, 19
	s_abs_i32 s6, s16
	v_cvt_f32_u32_e32 v3, s6
	s_lshl_b32 s0, s18, 1
	s_waitcnt lgkmcnt(0)
	v_writelane_b32 v126, s10, 20
	s_abs_i32 s1, s15
	v_rcp_iflag_f32_e32 v3, v3
	v_writelane_b32 v126, s11, 21
	v_writelane_b32 v126, s28, 22
	v_cvt_f32_u32_e32 v4, s1
	v_mul_f32_e32 v3, 0x4f7ffffe, v3
	v_writelane_b32 v126, s29, 23
	v_writelane_b32 v126, s30, 24
	;; [unrolled: 1-line block ×4, first 2 shown]
	v_cvt_u32_f32_e32 v3, v3
	v_rcp_iflag_f32_e32 v4, v4
	v_writelane_b32 v126, s13, 27
	v_writelane_b32 v126, s18, 28
	;; [unrolled: 1-line block ×3, first 2 shown]
	s_lshl_b32 s0, s27, 1
	v_writelane_b32 v126, s0, 30
	s_lshl_b32 s0, s26, 1
	v_writelane_b32 v126, s0, 31
	s_ashr_i32 s0, s16, 31
	v_writelane_b32 v126, s0, 32
	s_sub_i32 s0, 0, s6
	v_mul_lo_u32 v5, s0, v3
	v_mul_hi_u32 v5, v3, v5
	v_add_u32_e32 v3, v3, v5
	scratch_store_dword off, v3, off        ; 4-byte Folded Spill
	v_cvt_f32_u32_e32 v3, s4
	v_mul_f32_e32 v4, 0x4f7ffffe, v4
	v_cvt_u32_f32_e32 v4, v4
	v_writelane_b32 v126, s6, 33
	v_rcp_iflag_f32_e32 v3, v3
	s_ashr_i32 s0, s15, 31
	v_writelane_b32 v126, s0, 34
	s_sub_i32 s0, 0, s1
	v_mul_f32_e32 v3, 0x4f7ffffe, v3
	v_cvt_u32_f32_e32 v3, v3
	v_mul_lo_u32 v5, s0, v4
	v_writelane_b32 v126, s1, 35
	v_mul_hi_u32 v5, v4, v5
	s_ashr_i32 s0, s14, 31
	v_add_u32_e32 v4, v4, v5
	v_writelane_b32 v126, s0, 36
	s_sub_i32 s0, 0, s4
	scratch_store_dword off, v4, off offset:4 ; 4-byte Folded Spill
	v_mul_lo_u32 v4, s0, v3
	s_abs_i32 s0, s20
	v_cvt_f32_u32_e32 v5, s0
	v_mul_hi_u32 v4, v3, v4
	v_add_u32_e32 v3, v3, v4
	scratch_store_dword off, v3, off offset:8 ; 4-byte Folded Spill
	v_rcp_iflag_f32_e32 v4, v5
	v_mul_lo_u32 v3, s8, v2
	v_mul_hi_u32 v3, v2, v3
	v_add_u32_e32 v2, v2, v3
	scratch_store_dword off, v2, off offset:12 ; 4-byte Folded Spill
	v_mul_f32_e32 v2, 0x4f7ffffe, v4
	v_cvt_u32_f32_e32 v2, v2
	v_writelane_b32 v126, s4, 37
	s_ashr_i32 s1, s20, 31
	v_writelane_b32 v126, s1, 38
	s_abs_i32 s1, s21
	v_writelane_b32 v126, s0, 39
	s_sub_i32 s0, 0, s0
	v_cvt_f32_u32_e32 v3, s1
	v_mul_lo_u32 v4, s0, v2
	v_mul_hi_u32 v4, v2, v4
	v_add_u32_e32 v2, v2, v4
	scratch_store_dword off, v2, off offset:16 ; 4-byte Folded Spill
	v_cvt_f32_u32_e32 v2, s33
	v_rcp_iflag_f32_e32 v3, v3
	s_ashr_i32 s0, s21, 31
	v_writelane_b32 v126, s0, 40
	v_writelane_b32 v126, s1, 41
	v_rcp_iflag_f32_e32 v2, v2
	v_writelane_b32 v126, s20, 42
	v_mul_f32_e32 v3, 0x4f7ffffe, v3
	v_cvt_u32_f32_e32 v3, v3
	v_writelane_b32 v126, s21, 43
	v_writelane_b32 v126, s22, 44
	;; [unrolled: 1-line block ×3, first 2 shown]
	v_mul_f32_e32 v2, 0x4f7ffffe, v2
	v_writelane_b32 v126, s24, 46
	s_sub_i32 s0, 0, s1
	v_cvt_u32_f32_e32 v2, v2
	v_writelane_b32 v126, s25, 47
	v_mul_lo_u32 v4, s0, v3
	v_writelane_b32 v126, s26, 48
	v_mul_hi_u32 v4, v3, v4
	v_writelane_b32 v126, s27, 49
	s_ashr_i32 s0, s22, 31
	v_add_u32_e32 v3, v3, v4
	v_writelane_b32 v126, s0, 50
	s_sub_i32 s0, 0, s33
	scratch_store_dword off, v3, off offset:20 ; 4-byte Folded Spill
	v_mul_lo_u32 v3, s0, v2
	v_mul_hi_u32 v3, v2, v3
	v_add_u32_e32 v70, v2, v3
	v_cndmask_b32_e64 v2, 0, 1, s[2:3]
	v_cmp_ne_u32_e64 s[0:1], 1, v2
	s_mov_b64 s[4:5], 0
	s_nop 0
	v_writelane_b32 v126, s0, 51
	s_nop 1
	v_writelane_b32 v126, s1, 52
	v_writelane_b32 v126, s16, 53
	s_nop 1
	v_writelane_b32 v126, s17, 54
.LBB30_2:                               ; =>This Loop Header: Depth=1
                                        ;     Child Loop BB30_5 Depth 2
	scratch_load_dword v4, off, off         ; 4-byte Folded Reload
	v_writelane_b32 v126, s4, 55
	v_sub_u32_e32 v3, 0, v0
	v_ashrrev_i32_e32 v2, 31, v0
	v_writelane_b32 v126, s5, 56
	v_max_i32_e32 v3, v0, v3
	v_readlane_b32 s0, v126, 32
	s_waitcnt vmcnt(0)
	v_mul_hi_u32 v4, v3, v4
	v_xor_b32_e32 v2, s0, v2
	v_readlane_b32 s0, v126, 33
	s_nop 1
	v_mul_lo_u32 v5, v4, s0
	v_sub_u32_e32 v3, v3, v5
	v_add_u32_e32 v5, 1, v4
	v_cmp_le_u32_e32 vcc, s0, v3
	s_nop 1
	v_cndmask_b32_e32 v4, v4, v5, vcc
	v_subrev_u32_e32 v5, s0, v3
	v_cndmask_b32_e32 v3, v3, v5, vcc
	v_add_u32_e32 v5, 1, v4
	v_cmp_le_u32_e32 vcc, s0, v3
	v_readlane_b32 s0, v126, 34
	s_nop 0
	v_cndmask_b32_e32 v3, v4, v5, vcc
	scratch_load_dword v5, off, off offset:4 ; 4-byte Folded Reload
	v_xor_b32_e32 v3, v3, v2
	v_sub_u32_e32 v2, v3, v2
	v_mul_lo_u32 v3, v2, s16
	v_sub_u32_e32 v4, 0, v2
	v_sub_u32_e32 v71, v0, v3
	v_ashrrev_i32_e32 v3, 31, v2
	v_max_i32_e32 v4, v2, v4
	v_xor_b32_e32 v3, s0, v3
	v_readlane_b32 s0, v126, 35
	s_waitcnt vmcnt(0)
	v_mul_hi_u32 v5, v4, v5
	v_mul_lo_u32 v6, v5, s0
	v_sub_u32_e32 v4, v4, v6
	v_add_u32_e32 v6, 1, v5
	v_cmp_le_u32_e32 vcc, s0, v4
	s_nop 1
	v_cndmask_b32_e32 v5, v5, v6, vcc
	v_subrev_u32_e32 v6, s0, v4
	v_cndmask_b32_e32 v4, v4, v6, vcc
	v_add_u32_e32 v6, 1, v5
	v_cmp_le_u32_e32 vcc, s0, v4
	v_readlane_b32 s0, v126, 1
	v_readlane_b32 s3, v126, 4
	v_cndmask_b32_e32 v4, v5, v6, vcc
	scratch_load_dword v5, off, off offset:8 ; 4-byte Folded Reload
	v_xor_b32_e32 v4, v4, v3
	v_sub_u32_e32 v3, v4, v3
	v_mul_lo_u32 v4, v3, s3
	v_sub_u32_e32 v72, v2, v4
	v_sub_u32_e32 v4, 0, v3
	v_ashrrev_i32_e32 v2, 31, v3
	v_readlane_b32 s0, v126, 36
	v_max_i32_e32 v4, v3, v4
	v_readlane_b32 s2, v126, 3
	v_xor_b32_e32 v2, s0, v2
	v_readlane_b32 s0, v126, 37
	v_readlane_b32 s1, v126, 2
	s_waitcnt vmcnt(0)
	v_mul_hi_u32 v5, v4, v5
	v_mul_lo_u32 v6, v5, s0
	v_sub_u32_e32 v4, v4, v6
	v_add_u32_e32 v6, 1, v5
	v_cmp_le_u32_e32 vcc, s0, v4
	s_nop 1
	v_cndmask_b32_e32 v5, v5, v6, vcc
	v_subrev_u32_e32 v6, s0, v4
	v_cndmask_b32_e32 v4, v4, v6, vcc
	v_add_u32_e32 v6, 1, v5
	v_cmp_le_u32_e32 vcc, s0, v4
	v_readlane_b32 s0, v126, 13
	s_nop 0
	v_cndmask_b32_e32 v4, v5, v6, vcc
	scratch_load_dword v5, off, off offset:12 ; 4-byte Folded Reload
	v_xor_b32_e32 v4, v4, v2
	v_sub_u32_e32 v2, v4, v2
	v_mul_lo_u32 v4, v2, s2
	v_sub_u32_e32 v73, v3, v4
	v_sub_u32_e32 v4, 0, v2
	v_ashrrev_i32_e32 v3, 31, v2
	v_max_i32_e32 v4, v2, v4
	v_xor_b32_e32 v3, s0, v3
	v_readlane_b32 s0, v126, 0
	s_waitcnt vmcnt(0)
	v_mul_hi_u32 v5, v4, v5
	v_mul_lo_u32 v6, v5, s0
	v_sub_u32_e32 v4, v4, v6
	v_add_u32_e32 v6, 1, v5
	v_cmp_le_u32_e32 vcc, s0, v4
	s_nop 1
	v_cndmask_b32_e32 v5, v5, v6, vcc
	v_subrev_u32_e32 v6, s0, v4
	v_cndmask_b32_e32 v4, v4, v6, vcc
	v_add_u32_e32 v6, 1, v5
	v_cmp_le_u32_e32 vcc, s0, v4
	s_nop 1
	v_cndmask_b32_e32 v4, v5, v6, vcc
	v_xor_b32_e32 v4, v4, v3
	v_sub_u32_e32 v75, v4, v3
	v_mul_lo_u32 v3, v75, s1
	v_readlane_b32 s0, v126, 51
	v_readlane_b32 s1, v126, 52
	s_and_b64 vcc, exec, s[0:1]
	v_sub_u32_e32 v74, v2, v3
	s_cbranch_vccnz .LBB30_60
; %bb.3:                                ;   in Loop: Header=BB30_2 Depth=1
	scratch_load_dword v15, off, off offset:16 ; 4-byte Folded Reload
	scratch_load_dword v12, off, off offset:20 ; 4-byte Folded Reload
	v_readlane_b32 s44, v126, 42
	v_readlane_b32 s47, v126, 45
	;; [unrolled: 1-line block ×4, first 2 shown]
	v_add_u32_e32 v4, s47, v73
	v_sub_u32_e32 v6, 0, v4
	v_max_i32_e32 v6, v4, v6
	v_ashrrev_i32_e32 v3, 31, v4
	v_readlane_b32 s48, v126, 46
	v_xor_b32_e32 v3, s26, v3
	v_readlane_b32 s0, v126, 9
	v_add_u32_e32 v5, s48, v72
	v_readlane_b32 s1, v126, 10
	s_mov_b32 s9, s1
	v_readlane_b32 s2, v126, 11
	v_readlane_b32 s3, v126, 12
	s_mov_b64 s[10:11], s[2:3]
	v_readlane_b32 s49, v126, 47
	v_readlane_b32 s7, v126, 40
	s_mov_b64 s[14:15], s[10:11]
	v_add_u32_e32 v2, s49, v71
	v_readlane_b32 s0, v126, 30
	v_readlane_b32 s51, v126, 49
	;; [unrolled: 1-line block ×3, first 2 shown]
	s_mov_b64 s[18:19], s[14:15]
	v_readlane_b32 s45, v126, 43
	v_readlane_b32 s46, v126, 44
	s_mov_b32 s17, s9
	s_mov_b64 s[22:23], s[14:15]
	s_mov_b32 s21, s17
	s_mov_b32 s29, s21
	s_mov_b64 s[30:31], s[22:23]
                                        ; implicit-def: $vgpr127 : SGPR spill to VGPR lane
	s_mov_b32 s53, s29
	v_mov_b32_e32 v78, 0
	s_waitcnt vmcnt(1)
	v_mul_hi_u32 v7, v6, v15
	v_mul_lo_u32 v8, v7, s6
	v_sub_u32_e32 v6, v6, v8
	v_add_u32_e32 v8, 1, v7
	v_cmp_le_u32_e32 vcc, s6, v6
	s_nop 1
	v_cndmask_b32_e32 v7, v7, v8, vcc
	v_subrev_u32_e32 v8, s6, v6
	v_cndmask_b32_e32 v6, v6, v8, vcc
	v_add_u32_e32 v8, 1, v7
	v_cmp_le_u32_e32 vcc, s6, v6
	s_nop 1
	v_cndmask_b32_e32 v6, v7, v8, vcc
	v_xor_b32_e32 v6, v6, v3
	v_sub_u32_e32 v8, v6, v3
	v_sub_u32_e32 v6, 0, v5
	v_max_i32_e32 v6, v5, v6
	v_cmp_gt_i32_e32 vcc, s1, v8
	s_waitcnt vmcnt(0)
	v_mul_hi_u32 v7, v6, v12
	v_readlane_b32 s1, v126, 41
	v_ashrrev_i32_e32 v3, 31, v5
	v_xor_b32_e32 v3, s7, v3
	v_mul_lo_u32 v9, v7, s1
	v_sub_u32_e32 v6, v6, v9
	v_add_u32_e32 v9, 1, v7
	v_cmp_le_u32_e64 s[2:3], s1, v6
	s_nop 1
	v_cndmask_b32_e64 v7, v7, v9, s[2:3]
	v_subrev_u32_e32 v9, s1, v6
	v_cndmask_b32_e64 v6, v6, v9, s[2:3]
	v_add_u32_e32 v9, 1, v7
	v_cmp_le_u32_e64 s[2:3], s1, v6
	s_nop 1
	v_cndmask_b32_e64 v6, v7, v9, s[2:3]
	v_sub_u32_e32 v7, 0, v2
	v_max_i32_e32 v7, v2, v7
	v_mul_hi_u32 v9, v7, v70
	v_mul_lo_u32 v10, v9, s33
	v_sub_u32_e32 v7, v7, v10
	v_add_u32_e32 v10, 1, v9
	v_cmp_le_u32_e64 s[4:5], s33, v7
	v_xor_b32_e32 v6, v6, v3
	v_sub_u32_e32 v3, v6, v3
	v_cndmask_b32_e64 v9, v9, v10, s[4:5]
	v_subrev_u32_e32 v10, s33, v7
	v_cndmask_b32_e64 v7, v7, v10, s[4:5]
	v_cmp_gt_i32_e64 s[2:3], s10, v3
	v_ashrrev_i32_e32 v6, 31, v2
	v_readlane_b32 s10, v126, 50
	v_add_u32_e32 v10, 1, v9
	v_cmp_le_u32_e64 s[4:5], s33, v7
	v_xor_b32_e32 v6, s10, v6
	s_nop 0
	v_cndmask_b32_e64 v7, v9, v10, s[4:5]
	v_xor_b32_e32 v7, v7, v6
	v_sub_u32_e32 v56, v7, v6
	v_subrev_u32_e32 v6, s0, v5
	v_sub_u32_e32 v9, 0, v6
	v_max_i32_e32 v9, v6, v9
	v_mul_hi_u32 v10, v9, v12
	v_mul_lo_u32 v11, v10, s1
	v_sub_u32_e32 v9, v9, v11
	v_add_u32_e32 v11, 1, v10
	v_cmp_le_u32_e64 s[4:5], s1, v9
	v_ashrrev_i32_e32 v7, 31, v6
	v_xor_b32_e32 v7, s7, v7
	v_cndmask_b32_e64 v10, v10, v11, s[4:5]
	v_subrev_u32_e32 v11, s1, v9
	v_cndmask_b32_e64 v9, v9, v11, s[4:5]
	v_add_u32_e32 v11, 1, v10
	v_cmp_le_u32_e64 s[4:5], s1, v9
	v_readlane_b32 s0, v126, 31
	v_or_b32_e32 v16, v56, v3
	v_cndmask_b32_e64 v9, v10, v11, s[4:5]
	v_xor_b32_e32 v9, v9, v7
	v_sub_u32_e32 v57, v9, v7
	v_subrev_u32_e32 v9, s51, v5
	v_sub_u32_e32 v11, 0, v9
	v_max_i32_e32 v11, v9, v11
	v_mul_hi_u32 v12, v11, v12
	v_mul_lo_u32 v13, v12, s1
	v_sub_u32_e32 v11, v11, v13
	v_add_u32_e32 v13, 1, v12
	v_cmp_le_u32_e64 s[4:5], s1, v11
	v_ashrrev_i32_e32 v10, 31, v9
	v_xor_b32_e32 v10, s7, v10
	v_cndmask_b32_e64 v12, v12, v13, s[4:5]
	v_subrev_u32_e32 v13, s1, v11
	v_cndmask_b32_e64 v11, v11, v13, s[4:5]
	v_add_u32_e32 v13, 1, v12
	v_cmp_le_u32_e64 s[4:5], s1, v11
	v_or_b32_e32 v7, v56, v57
	v_or_b32_e32 v31, v7, v8
	v_cndmask_b32_e64 v11, v12, v13, s[4:5]
	v_xor_b32_e32 v11, v11, v10
	v_sub_u32_e32 v50, v11, v10
	v_subrev_u32_e32 v10, s0, v4
	v_sub_u32_e32 v11, 0, v10
	v_max_i32_e32 v11, v10, v11
	v_mul_hi_u32 v12, v11, v15
	v_mul_lo_u32 v14, v12, s6
	v_sub_u32_e32 v11, v11, v14
	v_add_u32_e32 v14, 1, v12
	v_cmp_le_u32_e64 s[4:5], s6, v11
	v_or_b32_e32 v13, v56, v50
	v_or_b32_e32 v28, v13, v8
	v_cndmask_b32_e64 v12, v12, v14, s[4:5]
	v_subrev_u32_e32 v14, s6, v11
	v_cndmask_b32_e64 v11, v11, v14, s[4:5]
	v_add_u32_e32 v14, 1, v12
	v_cmp_le_u32_e64 s[4:5], s6, v11
	s_nop 1
	v_cndmask_b32_e64 v17, v12, v14, s[4:5]
	v_subrev_u32_e32 v12, s50, v4
	v_sub_u32_e32 v14, 0, v12
	v_max_i32_e32 v14, v12, v14
	v_mul_hi_u32 v15, v14, v15
	v_mul_lo_u32 v18, v15, s6
	v_sub_u32_e32 v14, v14, v18
	v_add_u32_e32 v18, 1, v15
	v_cmp_le_u32_e64 s[4:5], s6, v14
	v_ashrrev_i32_e32 v11, 31, v12
	v_xor_b32_e32 v11, s26, v11
	v_cndmask_b32_e64 v15, v15, v18, s[4:5]
	v_subrev_u32_e32 v18, s6, v14
	v_cndmask_b32_e64 v14, v14, v18, s[4:5]
	v_add_u32_e32 v18, 1, v15
	v_cmp_le_u32_e64 s[4:5], s6, v14
	s_nop 1
	v_cndmask_b32_e64 v14, v15, v18, s[4:5]
	v_xor_b32_e32 v14, v14, v11
	v_sub_u32_e32 v26, v14, v11
	v_or_b32_e32 v11, v16, v8
	v_cmp_gt_i32_e64 s[4:5], s19, v56
	v_cmp_lt_i32_e64 s[6:7], -1, v11
	s_and_b64 s[12:13], s[4:5], s[2:3]
	s_and_b64 s[0:1], s[12:13], s[6:7]
	s_and_b64 s[0:1], s[0:1], vcc
	v_writelane_b32 v126, s0, 57
	v_or_b32_e32 v22, v16, v26
	s_nop 0
	v_writelane_b32 v126, s1, 58
	s_nop 0
	v_readlane_b32 s0, v126, 28
	s_nop 1
	v_subrev_u32_e32 v11, s0, v2
	v_sub_u32_e32 v15, 0, v11
	v_max_i32_e32 v15, v11, v15
	v_mul_hi_u32 v18, v15, v70
	v_mul_lo_u32 v19, v18, s33
	v_sub_u32_e32 v15, v15, v19
	v_add_u32_e32 v19, 1, v18
	v_cmp_le_u32_e64 s[6:7], s33, v15
	v_ashrrev_i32_e32 v14, 31, v11
	v_xor_b32_e32 v14, s10, v14
	v_cndmask_b32_e64 v18, v18, v19, s[6:7]
	v_subrev_u32_e32 v19, s33, v15
	v_cndmask_b32_e64 v15, v15, v19, s[6:7]
	v_add_u32_e32 v19, 1, v18
	v_cmp_le_u32_e64 s[6:7], s33, v15
	s_nop 1
	v_cndmask_b32_e64 v15, v18, v19, s[6:7]
	v_xor_b32_e32 v15, v15, v14
	v_sub_u32_e32 v58, v15, v14
	v_or_b32_e32 v20, v58, v3
	v_or_b32_e32 v14, v20, v8
	v_cmp_gt_i32_e64 s[6:7], s19, v58
	v_cmp_lt_i32_e64 s[8:9], -1, v14
	s_and_b64 s[14:15], s[6:7], s[2:3]
	s_and_b64 s[0:1], s[14:15], s[8:9]
	s_and_b64 s[0:1], s[0:1], vcc
	v_writelane_b32 v126, s0, 59
	v_or_b32_e32 v19, v58, v50
	v_or_b32_e32 v29, v19, v8
	v_writelane_b32 v126, s1, 60
	v_or_b32_e32 v15, v58, v57
	v_readlane_b32 s0, v126, 29
	v_or_b32_e32 v32, v15, v8
	v_or_b32_e32 v23, v20, v26
	v_subrev_u32_e32 v14, s0, v2
	v_sub_u32_e32 v21, 0, v14
	v_max_i32_e32 v21, v14, v21
	v_mul_hi_u32 v24, v21, v70
	v_mul_lo_u32 v25, v24, s33
	v_sub_u32_e32 v21, v21, v25
	v_add_u32_e32 v25, 1, v24
	v_cmp_le_u32_e64 s[8:9], s33, v21
	v_ashrrev_i32_e32 v18, 31, v14
	v_xor_b32_e32 v18, s10, v18
	v_cndmask_b32_e64 v24, v24, v25, s[8:9]
	v_subrev_u32_e32 v25, s33, v21
	v_cndmask_b32_e64 v21, v21, v25, s[8:9]
	v_add_u32_e32 v25, 1, v24
	v_cmp_le_u32_e64 s[8:9], s33, v21
	s_nop 1
	v_cndmask_b32_e64 v21, v24, v25, s[8:9]
	v_xor_b32_e32 v21, v21, v18
	v_sub_u32_e32 v60, v21, v18
	v_or_b32_e32 v24, v60, v3
	v_or_b32_e32 v27, v24, v8
	v_cmp_gt_i32_e64 s[10:11], s23, v60
	v_cmp_lt_i32_e64 s[8:9], -1, v27
	s_and_b64 s[16:17], s[10:11], s[2:3]
	s_and_b64 s[0:1], s[16:17], s[8:9]
	s_and_b64 s[0:1], s[0:1], vcc
	v_cmp_gt_i32_e64 s[2:3], s22, v50
	v_writelane_b32 v126, s0, 61
	v_cmp_lt_i32_e64 s[8:9], -1, v28
	s_and_b64 s[20:21], s[4:5], s[2:3]
	v_writelane_b32 v126, s1, 62
	s_and_b64 s[0:1], s[20:21], s[8:9]
	s_and_b64 s[0:1], s[0:1], vcc
	v_writelane_b32 v126, s0, 63
	v_cmp_lt_i32_e64 s[8:9], -1, v29
	s_and_b64 s[22:23], s[6:7], s[2:3]
	v_or_b32_e32 v21, v60, v50
	v_writelane_b32 v127, s1, 0
	s_and_b64 s[0:1], s[22:23], s[8:9]
	s_and_b64 s[0:1], s[0:1], vcc
	v_or_b32_e32 v30, v21, v8
	v_writelane_b32 v127, s0, 1
	v_cmp_lt_i32_e64 s[8:9], -1, v30
	s_and_b64 s[24:25], s[10:11], s[2:3]
	v_writelane_b32 v127, s1, 2
	s_and_b64 s[0:1], s[24:25], s[8:9]
	s_and_b64 s[0:1], s[0:1], vcc
	v_cmp_gt_i32_e64 s[2:3], s30, v57
	v_writelane_b32 v127, s0, 3
	v_cmp_lt_i32_e64 s[8:9], -1, v31
	s_and_b64 s[18:19], s[4:5], s[2:3]
	v_writelane_b32 v127, s1, 4
	s_and_b64 s[0:1], s[18:19], s[8:9]
	v_or_b32_e32 v18, v60, v57
	s_and_b64 s[0:1], s[0:1], vcc
	v_writelane_b32 v127, s0, 5
	v_cmp_lt_i32_e64 s[4:5], -1, v32
	s_and_b64 s[8:9], s[6:7], s[2:3]
	v_or_b32_e32 v33, v18, v8
	v_writelane_b32 v127, s1, 6
	s_and_b64 s[0:1], s[8:9], s[4:5]
	v_cmp_lt_i32_e64 s[4:5], -1, v33
	s_and_b64 s[10:11], s[10:11], s[2:3]
	s_and_b64 s[2:3], s[10:11], s[4:5]
	s_and_b64 s[88:89], s[0:1], vcc
	s_and_b64 s[0:1], s[2:3], vcc
	v_cmp_lt_i32_e64 s[2:3], -1, v22
	v_cmp_gt_i32_e32 vcc, s29, v26
	s_and_b64 s[2:3], s[12:13], s[2:3]
	s_and_b64 s[58:59], s[2:3], vcc
	v_cmp_lt_i32_e64 s[2:3], -1, v23
	v_or_b32_e32 v25, v24, v26
	s_and_b64 s[2:3], s[14:15], s[2:3]
	s_and_b64 s[68:69], s[2:3], vcc
	v_cmp_lt_i32_e64 s[2:3], -1, v25
	v_or_b32_e32 v27, v13, v26
	;; [unrolled: 4-line block ×6, first 2 shown]
	s_and_b64 s[2:3], s[18:19], s[2:3]
	v_ashrrev_i32_e32 v22, 31, v10
	s_and_b64 s[60:61], s[2:3], vcc
	v_cmp_lt_i32_e64 s[2:3], -1, v31
	v_xor_b32_e32 v22, s26, v22
	v_or_b32_e32 v32, v18, v26
	s_and_b64 s[2:3], s[8:9], s[2:3]
	v_xor_b32_e32 v17, v17, v22
	s_and_b64 s[62:63], s[2:3], vcc
	v_cmp_lt_i32_e64 s[2:3], -1, v32
	v_sub_u32_e32 v44, v17, v22
	s_and_b64 s[2:3], s[10:11], s[2:3]
	v_or_b32_e32 v16, v16, v44
	s_and_b64 s[64:65], s[2:3], vcc
	v_cmp_lt_i32_e32 vcc, -1, v16
	v_or_b32_e32 v16, v20, v44
	s_and_b64 s[12:13], s[12:13], vcc
	v_cmp_lt_i32_e32 vcc, -1, v16
	;; [unrolled: 3-line block ×6, first 2 shown]
	v_mul_lo_u32 v13, v8, s44
	v_mul_lo_u32 v16, v3, s45
	v_mul_lo_u32 v17, v50, s45
	v_mul_lo_u32 v19, v57, s45
	s_and_b64 s[24:25], s[24:25], vcc
	v_cmp_eq_u32_e32 vcc, v13, v4
	v_cmp_eq_u32_e64 s[2:3], v16, v5
	v_cmp_eq_u32_e64 s[4:5], v17, v9
	;; [unrolled: 1-line block ×3, first 2 shown]
	v_mul_lo_u32 v4, v26, s44
	s_and_b64 s[26:27], vcc, s[2:3]
	s_and_b64 s[28:29], vcc, s[4:5]
	;; [unrolled: 1-line block ×3, first 2 shown]
	v_cmp_eq_u32_e32 vcc, v4, v12
	v_mul_lo_u32 v4, v44, s44
	s_and_b64 s[34:35], vcc, s[2:3]
	s_and_b64 s[36:37], vcc, s[4:5]
	;; [unrolled: 1-line block ×3, first 2 shown]
	v_cmp_eq_u32_e32 vcc, v4, v10
	v_or_b32_e32 v4, v7, v44
	s_and_b64 s[42:43], vcc, s[2:3]
	s_and_b64 s[48:49], vcc, s[4:5]
	s_and_b64 s[56:57], vcc, s[6:7]
	v_cmp_lt_i32_e32 vcc, -1, v4
	v_or_b32_e32 v4, v15, v44
	s_and_b64 s[2:3], s[18:19], vcc
	v_cmp_lt_i32_e32 vcc, -1, v4
	v_or_b32_e32 v4, v18, v44
	s_and_b64 s[4:5], s[8:9], vcc
	v_cmp_lt_i32_e32 vcc, -1, v4
	v_mul_lo_u32 v4, v56, s46
	v_mul_lo_u32 v5, v58, s46
	;; [unrolled: 1-line block ×3, first 2 shown]
	s_and_b64 s[6:7], s[10:11], vcc
	v_cmp_gt_i32_e32 vcc, s53, v44
	v_cmp_eq_u32_e64 s[50:51], v4, v2
	v_cmp_eq_u32_e64 s[52:53], v5, v11
	;; [unrolled: 1-line block ×3, first 2 shown]
	v_readlane_b32 s82, v126, 15
	s_and_b64 s[66:67], s[12:13], vcc
	s_and_b64 s[72:73], s[14:15], vcc
	;; [unrolled: 1-line block ×9, first 2 shown]
	s_and_b64 vcc, s[26:27], s[50:51]
	s_and_b64 s[2:3], s[26:27], s[52:53]
	s_and_b64 s[4:5], s[26:27], s[54:55]
	;; [unrolled: 1-line block ×26, first 2 shown]
	v_readlane_b32 s57, v126, 19
	v_readlane_b32 s83, v126, 16
	s_mul_i32 s56, s83, s57
	v_mul_lo_u32 v6, s82, v75
	v_readlane_b32 s80, v126, 9
	v_readlane_b32 s82, v126, 11
	;; [unrolled: 1-line block ×3, first 2 shown]
	v_mul_lo_u32 v2, s56, v74
	v_mul_lo_u32 v20, v8, s82
	;; [unrolled: 1-line block ×4, first 2 shown]
	v_add_u32_e32 v8, v3, v20
	v_add_u32_e32 v26, v3, v38
	;; [unrolled: 1-line block ×3, first 2 shown]
	v_mul_lo_u32 v3, v3, s83
	v_mul_lo_u32 v76, v74, s57
	v_readlane_b32 s56, v126, 14
	v_add_u32_e32 v44, v56, v3
	v_add_u32_e32 v46, v58, v3
	;; [unrolled: 1-line block ×5, first 2 shown]
	v_mul_lo_u32 v4, s56, v76
	v_readlane_b32 s56, v126, 20
	v_mul_lo_u32 v3, v3, s83
	v_ashrrev_i32_e32 v5, 31, v4
	v_readlane_b32 s57, v126, 21
	v_add_u32_e32 v14, v50, v20
	v_add_u32_e32 v20, v57, v20
	;; [unrolled: 1-line block ×8, first 2 shown]
	v_lshl_add_u64 v[4:5], v[4:5], 1, s[56:57]
	v_readlane_b32 s56, v126, 7
	v_mul_lo_u32 v12, v8, s83
	v_mul_lo_u32 v18, v14, s83
	;; [unrolled: 1-line block ×7, first 2 shown]
	v_ashrrev_i32_e32 v7, 31, v6
	v_readlane_b32 s57, v126, 8
	v_readlane_b32 s81, v126, 10
	v_add_u32_e32 v8, v56, v12
	v_add_u32_e32 v10, v58, v12
	;; [unrolled: 1-line block ×21, first 2 shown]
	v_lshl_add_u64 v[6:7], v[6:7], 1, s[56:57]
	v_ashrrev_i32_e32 v9, 31, v8
	v_ashrrev_i32_e32 v11, 31, v10
	;; [unrolled: 1-line block ×18, first 2 shown]
	s_mov_b64 s[80:81], s[88:89]
	v_ashrrev_i32_e32 v45, 31, v44
	v_ashrrev_i32_e32 v47, 31, v46
	;; [unrolled: 1-line block ×9, first 2 shown]
	s_mov_b64 s[88:89], 0
	s_branch .LBB30_5
.LBB30_4:                               ;   in Loop: Header=BB30_5 Depth=2
	s_or_b64 exec, exec, s[56:57]
	s_waitcnt vmcnt(26)
	v_lshlrev_b32_e32 v62, 16, v79
	v_fma_f32 v3, v3, v62, v78
	v_cndmask_b32_e32 v3, v78, v3, vcc
	s_waitcnt vmcnt(25)
	v_lshlrev_b32_e32 v62, 16, v80
	v_fma_f32 v62, v82, v62, v3
	v_cndmask_b32_e64 v3, v3, v62, s[2:3]
	s_waitcnt vmcnt(24)
	v_lshlrev_b32_e32 v62, 16, v83
	v_fma_f32 v62, v81, v62, v3
	v_cndmask_b32_e64 v3, v3, v62, s[4:5]
	;; [unrolled: 4-line block ×24, first 2 shown]
	s_waitcnt vmcnt(1)
	v_lshlrev_b32_e32 v62, 16, v66
	v_add_u32_e32 v76, 1, v76
	v_fma_f32 v62, v68, v62, v3
	v_cmp_ge_i32_e64 s[56:57], v76, v77
	v_cndmask_b32_e64 v3, v3, v62, s[52:53]
	s_waitcnt vmcnt(0)
	v_lshlrev_b32_e32 v62, 16, v69
	s_or_b64 s[88:89], s[56:57], s[88:89]
	v_readlane_b32 s56, v126, 15
	v_fma_f32 v62, v67, v62, v3
	v_readlane_b32 s57, v126, 16
	v_cndmask_b32_e64 v78, v3, v62, s[54:55]
	v_lshl_add_u64 v[4:5], v[4:5], 0, 54
	v_add_u32_e32 v2, s57, v2
	s_andn2_b64 exec, exec, s[88:89]
	s_cbranch_execz .LBB30_59
.LBB30_5:                               ;   Parent Loop BB30_2 Depth=1
                                        ; =>  This Inner Loop Header: Depth=2
	global_load_ushort v79, v[4:5], off
	v_ashrrev_i32_e32 v3, 31, v2
	v_lshl_add_u64 v[62:63], v[2:3], 1, v[6:7]
	v_mov_b32_e32 v3, 0
	s_mov_b64 s[56:57], exec
	v_readlane_b32 s82, v126, 57
	v_readlane_b32 s83, v126, 58
	s_and_b64 s[82:83], s[56:57], s[82:83]
	s_mov_b64 exec, s[82:83]
	s_cbranch_execz .LBB30_7
; %bb.6:                                ;   in Loop: Header=BB30_5 Depth=2
	v_lshl_add_u64 v[64:65], v[8:9], 1, v[62:63]
	global_load_ushort v3, v[64:65], off
	s_waitcnt vmcnt(0)
	v_lshlrev_b32_e32 v3, 16, v3
.LBB30_7:                               ;   in Loop: Header=BB30_5 Depth=2
	s_or_b64 exec, exec, s[56:57]
	global_load_ushort v80, v[4:5], off offset:2
	v_mov_b32_e32 v81, 0
	v_mov_b32_e32 v82, 0
	s_mov_b64 s[56:57], exec
	v_readlane_b32 s82, v126, 59
	v_readlane_b32 s83, v126, 60
	s_and_b64 s[82:83], s[56:57], s[82:83]
	s_mov_b64 exec, s[82:83]
	s_cbranch_execz .LBB30_9
; %bb.8:                                ;   in Loop: Header=BB30_5 Depth=2
	v_lshl_add_u64 v[64:65], v[10:11], 1, v[62:63]
	global_load_ushort v64, v[64:65], off
	s_waitcnt vmcnt(0)
	v_lshlrev_b32_e32 v82, 16, v64
.LBB30_9:                               ;   in Loop: Header=BB30_5 Depth=2
	s_or_b64 exec, exec, s[56:57]
	global_load_ushort v83, v[4:5], off offset:4
	s_mov_b64 s[56:57], exec
	v_readlane_b32 s82, v126, 61
	v_readlane_b32 s83, v126, 62
	s_and_b64 s[82:83], s[56:57], s[82:83]
	s_mov_b64 exec, s[82:83]
	s_cbranch_execz .LBB30_11
; %bb.10:                               ;   in Loop: Header=BB30_5 Depth=2
	v_lshl_add_u64 v[64:65], v[12:13], 1, v[62:63]
	global_load_ushort v64, v[64:65], off
	s_waitcnt vmcnt(0)
	v_lshlrev_b32_e32 v81, 16, v64
.LBB30_11:                              ;   in Loop: Header=BB30_5 Depth=2
	s_or_b64 exec, exec, s[56:57]
	global_load_ushort v84, v[4:5], off offset:6
	v_mov_b32_e32 v85, 0
	v_mov_b32_e32 v86, 0
	s_mov_b64 s[56:57], exec
	v_readlane_b32 s82, v126, 63
	v_readlane_b32 s83, v127, 0
	s_and_b64 s[82:83], s[56:57], s[82:83]
	s_mov_b64 exec, s[82:83]
	s_cbranch_execz .LBB30_13
; %bb.12:                               ;   in Loop: Header=BB30_5 Depth=2
	v_lshl_add_u64 v[64:65], v[14:15], 1, v[62:63]
	global_load_ushort v64, v[64:65], off
	s_waitcnt vmcnt(0)
	v_lshlrev_b32_e32 v86, 16, v64
.LBB30_13:                              ;   in Loop: Header=BB30_5 Depth=2
	s_or_b64 exec, exec, s[56:57]
	global_load_ushort v87, v[4:5], off offset:8
	s_mov_b64 s[56:57], exec
	v_readlane_b32 s82, v127, 1
	v_readlane_b32 s83, v127, 2
	s_and_b64 s[82:83], s[56:57], s[82:83]
	s_mov_b64 exec, s[82:83]
	s_cbranch_execz .LBB30_15
; %bb.14:                               ;   in Loop: Header=BB30_5 Depth=2
	v_lshl_add_u64 v[64:65], v[16:17], 1, v[62:63]
	global_load_ushort v64, v[64:65], off
	s_waitcnt vmcnt(0)
	v_lshlrev_b32_e32 v85, 16, v64
.LBB30_15:                              ;   in Loop: Header=BB30_5 Depth=2
	s_or_b64 exec, exec, s[56:57]
	global_load_ushort v88, v[4:5], off offset:10
	v_mov_b32_e32 v89, 0
	v_mov_b32_e32 v90, 0
	s_mov_b64 s[56:57], exec
	v_readlane_b32 s82, v127, 3
	v_readlane_b32 s83, v127, 4
	s_and_b64 s[82:83], s[56:57], s[82:83]
	s_mov_b64 exec, s[82:83]
	s_cbranch_execz .LBB30_17
; %bb.16:                               ;   in Loop: Header=BB30_5 Depth=2
	v_lshl_add_u64 v[64:65], v[18:19], 1, v[62:63]
	global_load_ushort v64, v[64:65], off
	s_waitcnt vmcnt(0)
	v_lshlrev_b32_e32 v90, 16, v64
.LBB30_17:                              ;   in Loop: Header=BB30_5 Depth=2
	s_or_b64 exec, exec, s[56:57]
	global_load_ushort v91, v[4:5], off offset:12
	s_mov_b64 s[56:57], exec
	v_readlane_b32 s82, v127, 5
	v_readlane_b32 s83, v127, 6
	s_and_b64 s[82:83], s[56:57], s[82:83]
	s_mov_b64 exec, s[82:83]
	s_cbranch_execz .LBB30_19
; %bb.18:                               ;   in Loop: Header=BB30_5 Depth=2
	v_lshl_add_u64 v[64:65], v[20:21], 1, v[62:63]
	global_load_ushort v64, v[64:65], off
	s_waitcnt vmcnt(0)
	v_lshlrev_b32_e32 v89, 16, v64
.LBB30_19:                              ;   in Loop: Header=BB30_5 Depth=2
	s_or_b64 exec, exec, s[56:57]
	global_load_ushort v92, v[4:5], off offset:14
	v_mov_b32_e32 v93, 0
	v_mov_b32_e32 v94, 0
	s_and_saveexec_b64 s[56:57], s[80:81]
	s_cbranch_execz .LBB30_21
; %bb.20:                               ;   in Loop: Header=BB30_5 Depth=2
	v_lshl_add_u64 v[64:65], v[22:23], 1, v[62:63]
	global_load_ushort v64, v[64:65], off
	s_waitcnt vmcnt(0)
	v_lshlrev_b32_e32 v94, 16, v64
.LBB30_21:                              ;   in Loop: Header=BB30_5 Depth=2
	s_or_b64 exec, exec, s[56:57]
	global_load_ushort v95, v[4:5], off offset:16
	s_and_saveexec_b64 s[56:57], s[0:1]
	s_cbranch_execz .LBB30_23
; %bb.22:                               ;   in Loop: Header=BB30_5 Depth=2
	v_lshl_add_u64 v[64:65], v[24:25], 1, v[62:63]
	global_load_ushort v64, v[64:65], off
	s_waitcnt vmcnt(0)
	v_lshlrev_b32_e32 v93, 16, v64
.LBB30_23:                              ;   in Loop: Header=BB30_5 Depth=2
	s_or_b64 exec, exec, s[56:57]
	global_load_ushort v96, v[4:5], off offset:18
	v_mov_b32_e32 v97, 0
	v_mov_b32_e32 v98, 0
	s_and_saveexec_b64 s[56:57], s[58:59]
	s_cbranch_execz .LBB30_25
; %bb.24:                               ;   in Loop: Header=BB30_5 Depth=2
	v_lshl_add_u64 v[64:65], v[26:27], 1, v[62:63]
	global_load_ushort v64, v[64:65], off
	s_waitcnt vmcnt(0)
	v_lshlrev_b32_e32 v98, 16, v64
.LBB30_25:                              ;   in Loop: Header=BB30_5 Depth=2
	s_or_b64 exec, exec, s[56:57]
	global_load_ushort v99, v[4:5], off offset:20
	s_and_saveexec_b64 s[56:57], s[68:69]
	;; [unrolled: 22-line block ×10, first 2 shown]
	s_cbranch_execz .LBB30_4
; %bb.58:                               ;   in Loop: Header=BB30_5 Depth=2
	v_lshl_add_u64 v[62:63], v[60:61], 1, v[62:63]
	global_load_ushort v62, v[62:63], off
	s_waitcnt vmcnt(0)
	v_lshlrev_b32_e32 v67, 16, v62
	s_branch .LBB30_4
.LBB30_59:                              ;   in Loop: Header=BB30_2 Depth=1
	s_or_b64 exec, exec, s[88:89]
	v_readlane_b32 s16, v126, 53
	v_readlane_b32 s17, v126, 54
	s_branch .LBB30_61
.LBB30_60:                              ;   in Loop: Header=BB30_2 Depth=1
	v_mov_b32_e32 v78, 0
.LBB30_61:                              ;   in Loop: Header=BB30_2 Depth=1
	v_readlane_b32 s4, v126, 55
	v_readlane_b32 s5, v126, 56
; %bb.62:                               ;   in Loop: Header=BB30_2 Depth=1
	v_bfe_u32 v2, v78, 16, 1
	s_movk_i32 s0, 0x7fff
	v_add3_u32 v2, v78, v2, s0
	v_cmp_o_f32_e32 vcc, v78, v78
	v_mov_b32_e32 v3, 0x7fc0
	v_readlane_b32 s0, v126, 17
	v_cndmask_b32_sdwa v6, v3, v2, vcc dst_sel:DWORD dst_unused:UNUSED_PAD src0_sel:DWORD src1_sel:WORD_1
	v_mul_lo_u32 v2, v75, s17
	v_ashrrev_i32_e32 v3, 31, v2
	v_readlane_b32 s1, v126, 18
	s_nop 1
	v_lshl_add_u64 v[2:3], v[2:3], 1, s[0:1]
	v_readlane_b32 s0, v126, 22
	v_readlane_b32 s1, v126, 23
	;; [unrolled: 1-line block ×3, first 2 shown]
	v_mul_lo_u32 v4, s0, v74
	v_ashrrev_i32_e32 v5, 31, v4
	v_lshl_add_u64 v[2:3], v[4:5], 1, v[2:3]
	v_mul_lo_u32 v4, s1, v73
	v_ashrrev_i32_e32 v5, 31, v4
	v_readlane_b32 s0, v126, 26
	v_lshl_add_u64 v[2:3], v[4:5], 1, v[2:3]
	v_mul_lo_u32 v4, s2, v72
	v_readlane_b32 s1, v126, 27
	v_readlane_b32 s3, v126, 25
	v_ashrrev_i32_e32 v5, 31, v4
	v_lshl_add_u64 v[0:1], v[0:1], 0, s[0:1]
	v_readlane_b32 s0, v126, 5
	v_lshl_add_u64 v[2:3], v[4:5], 1, v[2:3]
	v_mul_lo_u32 v4, s3, v71
	v_readlane_b32 s1, v126, 6
	v_ashrrev_i32_e32 v5, 31, v4
	v_lshl_add_u64 v[2:3], v[4:5], 1, v[2:3]
	v_cmp_le_i64_e32 vcc, s[0:1], v[0:1]
	s_or_b64 s[4:5], vcc, s[4:5]
	global_store_short v[2:3], v6, off
	s_andn2_b64 exec, exec, s[4:5]
	s_cbranch_execnz .LBB30_2
.LBB30_63:
	s_endpgm
	.section	.rodata,"a",@progbits
	.p2align	6, 0x0
	.amdhsa_kernel _ZN2at6native12_GLOBAL__N_143conv_depthwise3d_cuda_backward_input_kernelIN3c108BFloat16EfLi3ELi3ELi3ELin1ELin1ELin1ELin1ELin1ELin1EEEvN5torch10headeronly6detail27GenericPackedTensorAccessorINS7_14TensorAccessorINS3_8ArrayRefIlEEKT_Lm4ENS6_16DefaultPtrTraitsEiEENS_6detail16IndexBoundsCheckILm5EiEESD_Lm5ESE_iEENS8_INS9_ISB_SC_Lm4ESE_iEESI_SC_Lm5ESE_iEESJ_iiiiiiiii
		.amdhsa_group_segment_fixed_size 0
		.amdhsa_private_segment_fixed_size 28
		.amdhsa_kernarg_size 440
		.amdhsa_user_sgpr_count 2
		.amdhsa_user_sgpr_dispatch_ptr 0
		.amdhsa_user_sgpr_queue_ptr 0
		.amdhsa_user_sgpr_kernarg_segment_ptr 1
		.amdhsa_user_sgpr_dispatch_id 0
		.amdhsa_user_sgpr_kernarg_preload_length 0
		.amdhsa_user_sgpr_kernarg_preload_offset 0
		.amdhsa_user_sgpr_private_segment_size 0
		.amdhsa_uses_dynamic_stack 0
		.amdhsa_enable_private_segment 1
		.amdhsa_system_sgpr_workgroup_id_x 1
		.amdhsa_system_sgpr_workgroup_id_y 0
		.amdhsa_system_sgpr_workgroup_id_z 0
		.amdhsa_system_sgpr_workgroup_info 0
		.amdhsa_system_vgpr_workitem_id 0
		.amdhsa_next_free_vgpr 128
		.amdhsa_next_free_sgpr 100
		.amdhsa_accum_offset 128
		.amdhsa_reserve_vcc 1
		.amdhsa_float_round_mode_32 0
		.amdhsa_float_round_mode_16_64 0
		.amdhsa_float_denorm_mode_32 3
		.amdhsa_float_denorm_mode_16_64 3
		.amdhsa_dx10_clamp 1
		.amdhsa_ieee_mode 1
		.amdhsa_fp16_overflow 0
		.amdhsa_tg_split 0
		.amdhsa_exception_fp_ieee_invalid_op 0
		.amdhsa_exception_fp_denorm_src 0
		.amdhsa_exception_fp_ieee_div_zero 0
		.amdhsa_exception_fp_ieee_overflow 0
		.amdhsa_exception_fp_ieee_underflow 0
		.amdhsa_exception_fp_ieee_inexact 0
		.amdhsa_exception_int_div_zero 0
	.end_amdhsa_kernel
	.section	.text._ZN2at6native12_GLOBAL__N_143conv_depthwise3d_cuda_backward_input_kernelIN3c108BFloat16EfLi3ELi3ELi3ELin1ELin1ELin1ELin1ELin1ELin1EEEvN5torch10headeronly6detail27GenericPackedTensorAccessorINS7_14TensorAccessorINS3_8ArrayRefIlEEKT_Lm4ENS6_16DefaultPtrTraitsEiEENS_6detail16IndexBoundsCheckILm5EiEESD_Lm5ESE_iEENS8_INS9_ISB_SC_Lm4ESE_iEESI_SC_Lm5ESE_iEESJ_iiiiiiiii,"axG",@progbits,_ZN2at6native12_GLOBAL__N_143conv_depthwise3d_cuda_backward_input_kernelIN3c108BFloat16EfLi3ELi3ELi3ELin1ELin1ELin1ELin1ELin1ELin1EEEvN5torch10headeronly6detail27GenericPackedTensorAccessorINS7_14TensorAccessorINS3_8ArrayRefIlEEKT_Lm4ENS6_16DefaultPtrTraitsEiEENS_6detail16IndexBoundsCheckILm5EiEESD_Lm5ESE_iEENS8_INS9_ISB_SC_Lm4ESE_iEESI_SC_Lm5ESE_iEESJ_iiiiiiiii,comdat
.Lfunc_end30:
	.size	_ZN2at6native12_GLOBAL__N_143conv_depthwise3d_cuda_backward_input_kernelIN3c108BFloat16EfLi3ELi3ELi3ELin1ELin1ELin1ELin1ELin1ELin1EEEvN5torch10headeronly6detail27GenericPackedTensorAccessorINS7_14TensorAccessorINS3_8ArrayRefIlEEKT_Lm4ENS6_16DefaultPtrTraitsEiEENS_6detail16IndexBoundsCheckILm5EiEESD_Lm5ESE_iEENS8_INS9_ISB_SC_Lm4ESE_iEESI_SC_Lm5ESE_iEESJ_iiiiiiiii, .Lfunc_end30-_ZN2at6native12_GLOBAL__N_143conv_depthwise3d_cuda_backward_input_kernelIN3c108BFloat16EfLi3ELi3ELi3ELin1ELin1ELin1ELin1ELin1ELin1EEEvN5torch10headeronly6detail27GenericPackedTensorAccessorINS7_14TensorAccessorINS3_8ArrayRefIlEEKT_Lm4ENS6_16DefaultPtrTraitsEiEENS_6detail16IndexBoundsCheckILm5EiEESD_Lm5ESE_iEENS8_INS9_ISB_SC_Lm4ESE_iEESI_SC_Lm5ESE_iEESJ_iiiiiiiii
                                        ; -- End function
	.set _ZN2at6native12_GLOBAL__N_143conv_depthwise3d_cuda_backward_input_kernelIN3c108BFloat16EfLi3ELi3ELi3ELin1ELin1ELin1ELin1ELin1ELin1EEEvN5torch10headeronly6detail27GenericPackedTensorAccessorINS7_14TensorAccessorINS3_8ArrayRefIlEEKT_Lm4ENS6_16DefaultPtrTraitsEiEENS_6detail16IndexBoundsCheckILm5EiEESD_Lm5ESE_iEENS8_INS9_ISB_SC_Lm4ESE_iEESI_SC_Lm5ESE_iEESJ_iiiiiiiii.num_vgpr, 128
	.set _ZN2at6native12_GLOBAL__N_143conv_depthwise3d_cuda_backward_input_kernelIN3c108BFloat16EfLi3ELi3ELi3ELin1ELin1ELin1ELin1ELin1ELin1EEEvN5torch10headeronly6detail27GenericPackedTensorAccessorINS7_14TensorAccessorINS3_8ArrayRefIlEEKT_Lm4ENS6_16DefaultPtrTraitsEiEENS_6detail16IndexBoundsCheckILm5EiEESD_Lm5ESE_iEENS8_INS9_ISB_SC_Lm4ESE_iEESI_SC_Lm5ESE_iEESJ_iiiiiiiii.num_agpr, 0
	.set _ZN2at6native12_GLOBAL__N_143conv_depthwise3d_cuda_backward_input_kernelIN3c108BFloat16EfLi3ELi3ELi3ELin1ELin1ELin1ELin1ELin1ELin1EEEvN5torch10headeronly6detail27GenericPackedTensorAccessorINS7_14TensorAccessorINS3_8ArrayRefIlEEKT_Lm4ENS6_16DefaultPtrTraitsEiEENS_6detail16IndexBoundsCheckILm5EiEESD_Lm5ESE_iEENS8_INS9_ISB_SC_Lm4ESE_iEESI_SC_Lm5ESE_iEESJ_iiiiiiiii.numbered_sgpr, 100
	.set _ZN2at6native12_GLOBAL__N_143conv_depthwise3d_cuda_backward_input_kernelIN3c108BFloat16EfLi3ELi3ELi3ELin1ELin1ELin1ELin1ELin1ELin1EEEvN5torch10headeronly6detail27GenericPackedTensorAccessorINS7_14TensorAccessorINS3_8ArrayRefIlEEKT_Lm4ENS6_16DefaultPtrTraitsEiEENS_6detail16IndexBoundsCheckILm5EiEESD_Lm5ESE_iEENS8_INS9_ISB_SC_Lm4ESE_iEESI_SC_Lm5ESE_iEESJ_iiiiiiiii.num_named_barrier, 0
	.set _ZN2at6native12_GLOBAL__N_143conv_depthwise3d_cuda_backward_input_kernelIN3c108BFloat16EfLi3ELi3ELi3ELin1ELin1ELin1ELin1ELin1ELin1EEEvN5torch10headeronly6detail27GenericPackedTensorAccessorINS7_14TensorAccessorINS3_8ArrayRefIlEEKT_Lm4ENS6_16DefaultPtrTraitsEiEENS_6detail16IndexBoundsCheckILm5EiEESD_Lm5ESE_iEENS8_INS9_ISB_SC_Lm4ESE_iEESI_SC_Lm5ESE_iEESJ_iiiiiiiii.private_seg_size, 28
	.set _ZN2at6native12_GLOBAL__N_143conv_depthwise3d_cuda_backward_input_kernelIN3c108BFloat16EfLi3ELi3ELi3ELin1ELin1ELin1ELin1ELin1ELin1EEEvN5torch10headeronly6detail27GenericPackedTensorAccessorINS7_14TensorAccessorINS3_8ArrayRefIlEEKT_Lm4ENS6_16DefaultPtrTraitsEiEENS_6detail16IndexBoundsCheckILm5EiEESD_Lm5ESE_iEENS8_INS9_ISB_SC_Lm4ESE_iEESI_SC_Lm5ESE_iEESJ_iiiiiiiii.uses_vcc, 1
	.set _ZN2at6native12_GLOBAL__N_143conv_depthwise3d_cuda_backward_input_kernelIN3c108BFloat16EfLi3ELi3ELi3ELin1ELin1ELin1ELin1ELin1ELin1EEEvN5torch10headeronly6detail27GenericPackedTensorAccessorINS7_14TensorAccessorINS3_8ArrayRefIlEEKT_Lm4ENS6_16DefaultPtrTraitsEiEENS_6detail16IndexBoundsCheckILm5EiEESD_Lm5ESE_iEENS8_INS9_ISB_SC_Lm4ESE_iEESI_SC_Lm5ESE_iEESJ_iiiiiiiii.uses_flat_scratch, 0
	.set _ZN2at6native12_GLOBAL__N_143conv_depthwise3d_cuda_backward_input_kernelIN3c108BFloat16EfLi3ELi3ELi3ELin1ELin1ELin1ELin1ELin1ELin1EEEvN5torch10headeronly6detail27GenericPackedTensorAccessorINS7_14TensorAccessorINS3_8ArrayRefIlEEKT_Lm4ENS6_16DefaultPtrTraitsEiEENS_6detail16IndexBoundsCheckILm5EiEESD_Lm5ESE_iEENS8_INS9_ISB_SC_Lm4ESE_iEESI_SC_Lm5ESE_iEESJ_iiiiiiiii.has_dyn_sized_stack, 0
	.set _ZN2at6native12_GLOBAL__N_143conv_depthwise3d_cuda_backward_input_kernelIN3c108BFloat16EfLi3ELi3ELi3ELin1ELin1ELin1ELin1ELin1ELin1EEEvN5torch10headeronly6detail27GenericPackedTensorAccessorINS7_14TensorAccessorINS3_8ArrayRefIlEEKT_Lm4ENS6_16DefaultPtrTraitsEiEENS_6detail16IndexBoundsCheckILm5EiEESD_Lm5ESE_iEENS8_INS9_ISB_SC_Lm4ESE_iEESI_SC_Lm5ESE_iEESJ_iiiiiiiii.has_recursion, 0
	.set _ZN2at6native12_GLOBAL__N_143conv_depthwise3d_cuda_backward_input_kernelIN3c108BFloat16EfLi3ELi3ELi3ELin1ELin1ELin1ELin1ELin1ELin1EEEvN5torch10headeronly6detail27GenericPackedTensorAccessorINS7_14TensorAccessorINS3_8ArrayRefIlEEKT_Lm4ENS6_16DefaultPtrTraitsEiEENS_6detail16IndexBoundsCheckILm5EiEESD_Lm5ESE_iEENS8_INS9_ISB_SC_Lm4ESE_iEESI_SC_Lm5ESE_iEESJ_iiiiiiiii.has_indirect_call, 0
	.section	.AMDGPU.csdata,"",@progbits
; Kernel info:
; codeLenInByte = 6964
; TotalNumSgprs: 106
; NumVgprs: 128
; NumAgprs: 0
; TotalNumVgprs: 128
; ScratchSize: 28
; MemoryBound: 0
; FloatMode: 240
; IeeeMode: 1
; LDSByteSize: 0 bytes/workgroup (compile time only)
; SGPRBlocks: 13
; VGPRBlocks: 15
; NumSGPRsForWavesPerEU: 106
; NumVGPRsForWavesPerEU: 128
; AccumOffset: 128
; Occupancy: 4
; WaveLimiterHint : 0
; COMPUTE_PGM_RSRC2:SCRATCH_EN: 1
; COMPUTE_PGM_RSRC2:USER_SGPR: 2
; COMPUTE_PGM_RSRC2:TRAP_HANDLER: 0
; COMPUTE_PGM_RSRC2:TGID_X_EN: 1
; COMPUTE_PGM_RSRC2:TGID_Y_EN: 0
; COMPUTE_PGM_RSRC2:TGID_Z_EN: 0
; COMPUTE_PGM_RSRC2:TIDIG_COMP_CNT: 0
; COMPUTE_PGM_RSRC3_GFX90A:ACCUM_OFFSET: 31
; COMPUTE_PGM_RSRC3_GFX90A:TG_SPLIT: 0
	.section	.text._ZN2at6native12_GLOBAL__N_143conv_depthwise3d_cuda_backward_input_kernelIN3c108BFloat16EfLin1ELin1ELin1ELin1ELin1ELin1ELin1ELin1ELin1EEEvN5torch10headeronly6detail27GenericPackedTensorAccessorINS7_14TensorAccessorINS3_8ArrayRefIlEEKT_Lm4ENS6_16DefaultPtrTraitsEiEENS_6detail16IndexBoundsCheckILm5EiEESD_Lm5ESE_iEENS8_INS9_ISB_SC_Lm4ESE_iEESI_SC_Lm5ESE_iEESJ_iiiiiiiii,"axG",@progbits,_ZN2at6native12_GLOBAL__N_143conv_depthwise3d_cuda_backward_input_kernelIN3c108BFloat16EfLin1ELin1ELin1ELin1ELin1ELin1ELin1ELin1ELin1EEEvN5torch10headeronly6detail27GenericPackedTensorAccessorINS7_14TensorAccessorINS3_8ArrayRefIlEEKT_Lm4ENS6_16DefaultPtrTraitsEiEENS_6detail16IndexBoundsCheckILm5EiEESD_Lm5ESE_iEENS8_INS9_ISB_SC_Lm4ESE_iEESI_SC_Lm5ESE_iEESJ_iiiiiiiii,comdat
	.globl	_ZN2at6native12_GLOBAL__N_143conv_depthwise3d_cuda_backward_input_kernelIN3c108BFloat16EfLin1ELin1ELin1ELin1ELin1ELin1ELin1ELin1ELin1EEEvN5torch10headeronly6detail27GenericPackedTensorAccessorINS7_14TensorAccessorINS3_8ArrayRefIlEEKT_Lm4ENS6_16DefaultPtrTraitsEiEENS_6detail16IndexBoundsCheckILm5EiEESD_Lm5ESE_iEENS8_INS9_ISB_SC_Lm4ESE_iEESI_SC_Lm5ESE_iEESJ_iiiiiiiii ; -- Begin function _ZN2at6native12_GLOBAL__N_143conv_depthwise3d_cuda_backward_input_kernelIN3c108BFloat16EfLin1ELin1ELin1ELin1ELin1ELin1ELin1ELin1ELin1EEEvN5torch10headeronly6detail27GenericPackedTensorAccessorINS7_14TensorAccessorINS3_8ArrayRefIlEEKT_Lm4ENS6_16DefaultPtrTraitsEiEENS_6detail16IndexBoundsCheckILm5EiEESD_Lm5ESE_iEENS8_INS9_ISB_SC_Lm4ESE_iEESI_SC_Lm5ESE_iEESJ_iiiiiiiii
	.p2align	8
	.type	_ZN2at6native12_GLOBAL__N_143conv_depthwise3d_cuda_backward_input_kernelIN3c108BFloat16EfLin1ELin1ELin1ELin1ELin1ELin1ELin1ELin1ELin1EEEvN5torch10headeronly6detail27GenericPackedTensorAccessorINS7_14TensorAccessorINS3_8ArrayRefIlEEKT_Lm4ENS6_16DefaultPtrTraitsEiEENS_6detail16IndexBoundsCheckILm5EiEESD_Lm5ESE_iEENS8_INS9_ISB_SC_Lm4ESE_iEESI_SC_Lm5ESE_iEESJ_iiiiiiiii,@function
_ZN2at6native12_GLOBAL__N_143conv_depthwise3d_cuda_backward_input_kernelIN3c108BFloat16EfLin1ELin1ELin1ELin1ELin1ELin1ELin1ELin1ELin1EEEvN5torch10headeronly6detail27GenericPackedTensorAccessorINS7_14TensorAccessorINS3_8ArrayRefIlEEKT_Lm4ENS6_16DefaultPtrTraitsEiEENS_6detail16IndexBoundsCheckILm5EiEESD_Lm5ESE_iEENS8_INS9_ISB_SC_Lm4ESE_iEESI_SC_Lm5ESE_iEESJ_iiiiiiiii: ; @_ZN2at6native12_GLOBAL__N_143conv_depthwise3d_cuda_backward_input_kernelIN3c108BFloat16EfLin1ELin1ELin1ELin1ELin1ELin1ELin1ELin1ELin1EEEvN5torch10headeronly6detail27GenericPackedTensorAccessorINS7_14TensorAccessorINS3_8ArrayRefIlEEKT_Lm4ENS6_16DefaultPtrTraitsEiEENS_6detail16IndexBoundsCheckILm5EiEESD_Lm5ESE_iEENS8_INS9_ISB_SC_Lm4ESE_iEESI_SC_Lm5ESE_iEESJ_iiiiiiiii
; %bb.0:
	s_load_dwordx4 s[20:23], s[0:1], 0x38
	s_load_dwordx2 s[10:11], s[0:1], 0x48
	s_load_dword s4, s[0:1], 0xc4
	v_mov_b32_e32 v3, s2
	v_mov_b32_e32 v1, 0
	s_waitcnt lgkmcnt(0)
	s_abs_i32 s33, s21
	v_cvt_f32_u32_e32 v2, s33
	s_add_u32 s2, s0, 0xb8
	s_mul_i32 s34, s11, s20
	s_addc_u32 s3, s1, 0
	v_rcp_iflag_f32_e32 v2, v2
	s_and_b32 s4, s4, 0xffff
	s_ashr_i32 s35, s34, 31
	v_mad_u64_u32 v[0:1], s[6:7], s4, v3, v[0:1]
	v_mul_f32_e32 v2, 0x4f7ffffe, v2
	v_cvt_u32_f32_e32 v2, v2
	v_cmp_gt_i64_e32 vcc, s[34:35], v[0:1]
	v_readfirstlane_b32 s5, v2
	s_and_saveexec_b64 s[6:7], vcc
	s_cbranch_execz .LBB31_19
; %bb.1:
	s_load_dwordx4 s[24:27], s[0:1], 0xc
	s_load_dwordx2 s[42:43], s[0:1], 0x0
	s_sub_i32 s8, 0, s33
	s_mul_i32 s9, s8, s5
	s_mul_hi_u32 s9, s5, s9
	s_waitcnt lgkmcnt(0)
	s_abs_i32 s7, s24
	s_add_i32 s5, s5, s9
	s_mul_hi_u32 s5, s7, s5
	s_mul_i32 s9, s5, s33
	s_ashr_i32 s20, s21, 31
	s_ashr_i32 s6, s24, 31
	s_load_dwordx8 s[12:19], s[0:1], 0x90
	s_load_dword s24, s[0:1], 0xb0
	s_load_dwordx4 s[28:31], s[0:1], 0x70
	s_sub_i32 s7, s7, s9
	s_xor_b32 s6, s6, s20
	s_add_i32 s9, s5, 1
	s_waitcnt lgkmcnt(0)
	s_sub_i32 s31, s7, s33
	s_cmp_ge_u32 s7, s33
	s_cselect_b32 s5, s9, s5
	s_cselect_b32 s7, s31, s7
	s_add_i32 s9, s5, 1
	s_cmp_ge_u32 s7, s33
	s_cselect_b32 s5, s9, s5
	s_xor_b32 s5, s5, s6
	s_sub_i32 s31, s5, s6
	s_cmp_gt_i32 s28, 0
	s_cselect_b64 s[44:45], -1, 0
	s_cmp_gt_i32 s29, 0
	s_cselect_b64 s[46:47], -1, 0
	;; [unrolled: 2-line block ×4, first 2 shown]
	s_abs_i32 s65, s10
	v_cvt_f32_u32_e32 v3, s65
	s_abs_i32 s67, s23
	v_cvt_f32_u32_e32 v4, s67
	s_load_dword s64, s[0:1], 0x7c
	v_rcp_iflag_f32_e32 v3, v3
	s_load_dword s5, s[2:3], 0x0
	s_load_dwordx2 s[52:53], s[0:1], 0x1c
	s_load_dwordx2 s[54:55], s[0:1], 0x30
	;; [unrolled: 1-line block ×3, first 2 shown]
	s_load_dwordx4 s[36:39], s[0:1], 0x50
	s_sub_i32 s0, 0, s65
	v_mul_f32_e32 v3, 0x4f7ffffe, v3
	v_cvt_u32_f32_e32 v3, v3
	s_abs_i32 s68, s22
	v_rcp_iflag_f32_e32 v4, v4
	s_abs_i32 s71, s12
	v_mul_lo_u32 v5, s0, v3
	v_mul_hi_u32 v5, v3, v5
	v_add_u32_e32 v8, v3, v5
	v_cvt_f32_u32_e32 v3, s68
	v_mul_f32_e32 v4, 0x4f7ffffe, v4
	v_cvt_u32_f32_e32 v4, v4
	s_sub_i32 s0, 0, s67
	v_rcp_iflag_f32_e32 v3, v3
	s_abs_i32 s73, s13
	v_mul_lo_u32 v5, s0, v4
	v_mul_hi_u32 v5, v4, v5
	v_mul_f32_e32 v3, 0x4f7ffffe, v3
	v_cvt_u32_f32_e32 v3, v3
	v_add_u32_e32 v9, v4, v5
	v_cvt_f32_u32_e32 v5, s71
	s_sub_i32 s0, 0, s68
	v_mul_lo_u32 v4, s0, v3
	v_mul_hi_u32 v4, v3, v4
	v_add_u32_e32 v10, v3, v4
	v_rcp_iflag_f32_e32 v4, v5
	v_mul_lo_u32 v3, s8, v2
	v_mul_hi_u32 v3, v2, v3
	v_add_u32_e32 v11, v2, v3
	v_mul_f32_e32 v2, 0x4f7ffffe, v4
	v_cvt_u32_f32_e32 v2, v2
	s_sub_i32 s0, 0, s71
	v_cvt_f32_u32_e32 v3, s73
	s_abs_i32 s74, s14
	v_mul_lo_u32 v4, s0, v2
	v_mul_hi_u32 v4, v2, v4
	v_add_u32_e32 v12, v2, v4
	v_cvt_f32_u32_e32 v2, s74
	v_rcp_iflag_f32_e32 v3, v3
	s_sub_i32 s0, 0, s73
	s_mov_b32 s41, 0
	v_rcp_iflag_f32_e32 v2, v2
	v_mul_f32_e32 v3, 0x4f7ffffe, v3
	v_cvt_u32_f32_e32 v3, v3
	s_waitcnt lgkmcnt(0)
	s_mul_i32 s40, s5, s4
	v_mul_f32_e32 v2, 0x4f7ffffe, v2
	v_cvt_u32_f32_e32 v2, v2
	v_mul_lo_u32 v4, s0, v3
	v_mul_hi_u32 v4, v3, v4
	s_sub_i32 s0, 0, s74
	v_add_u32_e32 v13, v3, v4
	v_mul_lo_u32 v3, s0, v2
	v_mul_hi_u32 v3, v2, v3
	s_ashr_i32 s66, s10, 31
	s_ashr_i32 s69, s23, 31
	;; [unrolled: 1-line block ×6, first 2 shown]
	v_add_u32_e32 v14, v2, v3
	s_mov_b64 s[58:59], 0
	s_movk_i32 s77, 0x7fff
	v_mov_b32_e32 v15, 0x7fc0
	s_branch .LBB31_4
.LBB31_2:                               ;   in Loop: Header=BB31_4 Depth=1
	s_or_b64 exec, exec, s[60:61]
.LBB31_3:                               ;   in Loop: Header=BB31_4 Depth=1
	v_bfe_u32 v2, v24, 16, 1
	v_add3_u32 v2, v24, v2, s77
	v_cmp_o_f32_e32 vcc, v24, v24
	v_mul_lo_u32 v4, s36, v20
	v_ashrrev_i32_e32 v5, 31, v4
	v_cndmask_b32_sdwa v6, v15, v2, vcc dst_sel:DWORD dst_unused:UNUSED_PAD src0_sel:DWORD src1_sel:WORD_1
	v_mul_lo_u32 v2, v19, s11
	v_ashrrev_i32_e32 v3, 31, v2
	v_lshl_add_u64 v[2:3], v[2:3], 1, s[54:55]
	v_lshl_add_u64 v[2:3], v[4:5], 1, v[2:3]
	v_mul_lo_u32 v4, s37, v18
	v_ashrrev_i32_e32 v5, 31, v4
	v_lshl_add_u64 v[2:3], v[4:5], 1, v[2:3]
	v_mul_lo_u32 v4, s38, v17
	v_ashrrev_i32_e32 v5, 31, v4
	v_lshl_add_u64 v[2:3], v[4:5], 1, v[2:3]
	v_mul_lo_u32 v4, s39, v16
	v_lshl_add_u64 v[0:1], v[0:1], 0, s[40:41]
	v_ashrrev_i32_e32 v5, 31, v4
	v_cmp_le_i64_e32 vcc, s[34:35], v[0:1]
	v_lshl_add_u64 v[2:3], v[4:5], 1, v[2:3]
	s_or_b64 s[58:59], vcc, s[58:59]
	global_store_short v[2:3], v6, off
	s_andn2_b64 exec, exec, s[58:59]
	s_cbranch_execz .LBB31_19
.LBB31_4:                               ; =>This Loop Header: Depth=1
                                        ;     Child Loop BB31_7 Depth 2
                                        ;       Child Loop BB31_10 Depth 3
                                        ;         Child Loop BB31_13 Depth 4
                                        ;           Child Loop BB31_16 Depth 5
	v_sub_u32_e32 v3, 0, v0
	v_max_i32_e32 v3, v0, v3
	v_mul_hi_u32 v4, v3, v8
	v_mul_lo_u32 v5, v4, s65
	v_sub_u32_e32 v3, v3, v5
	v_add_u32_e32 v5, 1, v4
	v_cmp_le_u32_e32 vcc, s65, v3
	v_ashrrev_i32_e32 v2, 31, v0
	v_xor_b32_e32 v2, s66, v2
	v_cndmask_b32_e32 v4, v4, v5, vcc
	v_subrev_u32_e32 v5, s65, v3
	v_cndmask_b32_e32 v3, v3, v5, vcc
	v_add_u32_e32 v5, 1, v4
	v_cmp_le_u32_e32 vcc, s65, v3
	s_nop 1
	v_cndmask_b32_e32 v3, v4, v5, vcc
	v_xor_b32_e32 v3, v3, v2
	v_sub_u32_e32 v2, v3, v2
	v_sub_u32_e32 v4, 0, v2
	v_max_i32_e32 v4, v2, v4
	v_mul_hi_u32 v5, v4, v9
	v_mul_lo_u32 v6, v5, s67
	v_sub_u32_e32 v4, v4, v6
	v_add_u32_e32 v6, 1, v5
	v_cmp_le_u32_e32 vcc, s67, v4
	v_mul_lo_u32 v3, v2, s10
	v_sub_u32_e32 v16, v0, v3
	v_cndmask_b32_e32 v5, v5, v6, vcc
	v_subrev_u32_e32 v6, s67, v4
	v_cndmask_b32_e32 v4, v4, v6, vcc
	v_ashrrev_i32_e32 v3, 31, v2
	v_add_u32_e32 v6, 1, v5
	v_cmp_le_u32_e32 vcc, s67, v4
	v_xor_b32_e32 v3, s69, v3
	s_nop 0
	v_cndmask_b32_e32 v4, v5, v6, vcc
	v_xor_b32_e32 v4, v4, v3
	v_sub_u32_e32 v3, v4, v3
	v_mul_lo_u32 v4, v3, s23
	v_sub_u32_e32 v17, v2, v4
	v_sub_u32_e32 v4, 0, v3
	v_max_i32_e32 v4, v3, v4
	v_mul_hi_u32 v5, v4, v10
	v_mul_lo_u32 v6, v5, s68
	v_sub_u32_e32 v4, v4, v6
	v_add_u32_e32 v6, 1, v5
	v_cmp_le_u32_e32 vcc, s68, v4
	v_ashrrev_i32_e32 v2, 31, v3
	v_xor_b32_e32 v2, s70, v2
	v_cndmask_b32_e32 v5, v5, v6, vcc
	v_subrev_u32_e32 v6, s68, v4
	v_cndmask_b32_e32 v4, v4, v6, vcc
	v_add_u32_e32 v6, 1, v5
	v_cmp_le_u32_e32 vcc, s68, v4
	s_nop 1
	v_cndmask_b32_e32 v4, v5, v6, vcc
	v_xor_b32_e32 v4, v4, v2
	v_sub_u32_e32 v2, v4, v2
	v_mul_lo_u32 v4, v2, s22
	v_sub_u32_e32 v18, v3, v4
	v_sub_u32_e32 v4, 0, v2
	v_max_i32_e32 v4, v2, v4
	v_mul_hi_u32 v5, v4, v11
	v_mul_lo_u32 v6, v5, s33
	v_sub_u32_e32 v4, v4, v6
	v_add_u32_e32 v6, 1, v5
	v_cmp_le_u32_e32 vcc, s33, v4
	v_ashrrev_i32_e32 v3, 31, v2
	v_xor_b32_e32 v3, s20, v3
	v_cndmask_b32_e32 v5, v5, v6, vcc
	v_subrev_u32_e32 v6, s33, v4
	v_cndmask_b32_e32 v4, v4, v6, vcc
	v_add_u32_e32 v6, 1, v5
	v_cmp_le_u32_e32 vcc, s33, v4
	s_nop 1
	v_cndmask_b32_e32 v4, v5, v6, vcc
	v_xor_b32_e32 v4, v4, v3
	v_sub_u32_e32 v19, v4, v3
	v_mul_lo_u32 v3, v19, s21
	s_andn2_b64 vcc, exec, s[50:51]
	v_sub_u32_e32 v20, v2, v3
	s_cbranch_vccnz .LBB31_18
; %bb.5:                                ;   in Loop: Header=BB31_4 Depth=1
	v_mul_lo_u32 v25, v20, s31
	v_mul_lo_u32 v2, s64, v25
	v_mul_lo_u32 v4, s52, v19
	v_ashrrev_i32_e32 v3, 31, v2
	v_ashrrev_i32_e32 v5, 31, v4
	v_add_u32_e32 v21, s17, v16
	v_add_u32_e32 v22, s16, v17
	;; [unrolled: 1-line block ×4, first 2 shown]
	v_lshl_add_u64 v[2:3], v[2:3], 1, s[56:57]
	v_lshl_add_u64 v[4:5], v[4:5], 1, s[42:43]
	v_mov_b32_e32 v24, 0
	s_mov_b64 s[60:61], 0
	s_branch .LBB31_7
.LBB31_6:                               ;   in Loop: Header=BB31_7 Depth=2
	v_add_u32_e32 v25, 1, v25
	v_cmp_ge_i32_e32 vcc, v25, v26
	s_or_b64 s[60:61], vcc, s[60:61]
	s_andn2_b64 exec, exec, s[60:61]
	s_cbranch_execz .LBB31_2
.LBB31_7:                               ;   Parent Loop BB31_4 Depth=1
                                        ; =>  This Loop Header: Depth=2
                                        ;       Child Loop BB31_10 Depth 3
                                        ;         Child Loop BB31_13 Depth 4
                                        ;           Child Loop BB31_16 Depth 5
	s_andn2_b64 vcc, exec, s[44:45]
	s_cbranch_vccnz .LBB31_6
; %bb.8:                                ;   in Loop: Header=BB31_7 Depth=2
	v_mul_lo_u32 v6, s53, v25
	v_ashrrev_i32_e32 v7, 31, v6
	v_lshl_add_u64 v[6:7], v[6:7], 1, v[4:5]
	s_mov_b32 s78, 0
	s_branch .LBB31_10
.LBB31_9:                               ;   in Loop: Header=BB31_10 Depth=3
	s_add_i32 s78, s78, 1
	s_cmp_eq_u32 s78, s28
	s_cbranch_scc1 .LBB31_6
.LBB31_10:                              ;   Parent Loop BB31_4 Depth=1
                                        ;     Parent Loop BB31_7 Depth=2
                                        ; =>    This Loop Header: Depth=3
                                        ;         Child Loop BB31_13 Depth 4
                                        ;           Child Loop BB31_16 Depth 5
	s_andn2_b64 vcc, exec, s[46:47]
	s_cbranch_vccnz .LBB31_9
; %bb.11:                               ;   in Loop: Header=BB31_10 Depth=3
	s_mul_i32 s0, s18, s78
	v_subrev_u32_e32 v28, s0, v23
	v_sub_u32_e32 v29, 0, v28
	v_max_i32_e32 v29, v28, v29
	v_mul_hi_u32 v30, v29, v12
	v_mul_lo_u32 v31, v30, s71
	v_sub_u32_e32 v29, v29, v31
	v_add_u32_e32 v31, 1, v30
	v_cmp_le_u32_e32 vcc, s71, v29
	v_ashrrev_i32_e32 v27, 31, v28
	v_xor_b32_e32 v27, s72, v27
	v_cndmask_b32_e32 v30, v30, v31, vcc
	v_subrev_u32_e32 v31, s71, v29
	v_cndmask_b32_e32 v29, v29, v31, vcc
	v_add_u32_e32 v31, 1, v30
	v_cmp_le_u32_e32 vcc, s71, v29
	s_mov_b32 s79, 0
	s_nop 0
	v_cndmask_b32_e32 v29, v30, v31, vcc
	v_xor_b32_e32 v29, v29, v27
	v_sub_u32_e32 v29, v29, v27
	v_cmp_lt_i32_e64 s[0:1], -1, v29
	v_cmp_gt_i32_e64 s[2:3], s25, v29
	v_mul_lo_u32 v27, v29, s26
	v_mul_lo_u32 v29, v29, s12
	v_cmp_eq_u32_e64 s[4:5], v29, v28
	s_branch .LBB31_13
.LBB31_12:                              ;   in Loop: Header=BB31_13 Depth=4
	s_add_i32 s79, s79, 1
	s_cmp_eq_u32 s79, s29
	s_cbranch_scc1 .LBB31_9
.LBB31_13:                              ;   Parent Loop BB31_4 Depth=1
                                        ;     Parent Loop BB31_7 Depth=2
                                        ;       Parent Loop BB31_10 Depth=3
                                        ; =>      This Loop Header: Depth=4
                                        ;           Child Loop BB31_16 Depth 5
	s_andn2_b64 vcc, exec, s[48:49]
	s_cbranch_vccnz .LBB31_12
; %bb.14:                               ;   in Loop: Header=BB31_13 Depth=4
	s_mul_i32 s6, s19, s79
	v_subrev_u32_e32 v29, s6, v22
	v_sub_u32_e32 v30, 0, v29
	v_max_i32_e32 v30, v29, v30
	v_mul_hi_u32 v31, v30, v13
	v_mul_lo_u32 v32, v31, s73
	v_sub_u32_e32 v30, v30, v32
	v_add_u32_e32 v32, 1, v31
	v_cmp_le_u32_e32 vcc, s73, v30
	v_ashrrev_i32_e32 v28, 31, v29
	v_xor_b32_e32 v28, s75, v28
	v_cndmask_b32_e32 v31, v31, v32, vcc
	v_subrev_u32_e32 v32, s73, v30
	v_cndmask_b32_e32 v30, v30, v32, vcc
	v_add_u32_e32 v32, 1, v31
	v_cmp_le_u32_e32 vcc, s73, v30
	s_mov_b32 s80, s30
	s_nop 0
	v_cndmask_b32_e32 v30, v31, v32, vcc
	v_xor_b32_e32 v30, v30, v28
	v_sub_u32_e32 v30, v30, v28
	v_cmp_lt_i32_e32 vcc, -1, v30
	v_cmp_gt_i32_e64 s[6:7], s26, v30
	v_add_u32_e32 v28, v30, v27
	v_mul_lo_u32 v30, v30, s13
	v_cmp_eq_u32_e64 s[8:9], v30, v29
	v_mul_lo_u32 v28, v28, s27
	s_and_b64 s[62:63], s[4:5], s[8:9]
	v_mov_b32_e32 v29, v21
	s_branch .LBB31_16
.LBB31_15:                              ;   in Loop: Header=BB31_16 Depth=5
	s_or_b64 exec, exec, s[8:9]
	v_mul_lo_u32 v31, v31, s14
	s_waitcnt vmcnt(0)
	v_lshlrev_b32_e32 v30, 16, v30
	v_cmp_eq_u32_e64 s[8:9], v29, v31
	v_fma_f32 v30, v32, v30, v24
	s_and_b64 s[8:9], s[62:63], s[8:9]
	s_add_i32 s80, s80, -1
	v_lshl_add_u64 v[2:3], v[2:3], 0, 2
	v_cndmask_b32_e64 v24, v24, v30, s[8:9]
	s_cmp_eq_u32 s80, 0
	v_subrev_u32_e32 v29, s24, v29
	s_cbranch_scc1 .LBB31_12
.LBB31_16:                              ;   Parent Loop BB31_4 Depth=1
                                        ;     Parent Loop BB31_7 Depth=2
                                        ;       Parent Loop BB31_10 Depth=3
                                        ;         Parent Loop BB31_13 Depth=4
                                        ; =>        This Inner Loop Header: Depth=5
	global_load_ushort v30, v[2:3], off
	v_sub_u32_e32 v32, 0, v29
	v_max_i32_e32 v32, v29, v32
	v_mul_hi_u32 v33, v32, v14
	v_mul_lo_u32 v34, v33, s74
	v_sub_u32_e32 v32, v32, v34
	v_add_u32_e32 v34, 1, v33
	v_cmp_le_u32_e64 s[8:9], s74, v32
	v_ashrrev_i32_e32 v31, 31, v29
	v_xor_b32_e32 v31, s76, v31
	v_cndmask_b32_e64 v33, v33, v34, s[8:9]
	v_subrev_u32_e32 v34, s74, v32
	v_cndmask_b32_e64 v32, v32, v34, s[8:9]
	v_add_u32_e32 v34, 1, v33
	v_cmp_le_u32_e64 s[8:9], s74, v32
	s_nop 1
	v_cndmask_b32_e64 v32, v33, v34, s[8:9]
	v_xor_b32_e32 v32, v32, v31
	v_sub_u32_e32 v31, v32, v31
	v_cmp_lt_i32_e64 s[8:9], -1, v31
	s_and_b64 s[8:9], s[8:9], vcc
	s_and_b64 s[82:83], s[8:9], s[0:1]
	v_cmp_gt_i32_e64 s[8:9], s27, v31
	s_and_b64 s[8:9], s[8:9], s[82:83]
	s_and_b64 s[8:9], s[8:9], s[6:7]
	;; [unrolled: 1-line block ×3, first 2 shown]
	v_mov_b32_e32 v32, 0
	s_and_saveexec_b64 s[8:9], s[82:83]
	s_cbranch_execz .LBB31_15
; %bb.17:                               ;   in Loop: Header=BB31_16 Depth=5
	v_add_u32_e32 v32, v31, v28
	v_ashrrev_i32_e32 v33, 31, v32
	v_lshl_add_u64 v[32:33], v[32:33], 1, v[6:7]
	global_load_ushort v32, v[32:33], off
	s_waitcnt vmcnt(0)
	v_lshlrev_b32_e32 v32, 16, v32
	s_branch .LBB31_15
.LBB31_18:                              ;   in Loop: Header=BB31_4 Depth=1
	v_mov_b32_e32 v24, 0
	s_branch .LBB31_3
.LBB31_19:
	s_endpgm
	.section	.rodata,"a",@progbits
	.p2align	6, 0x0
	.amdhsa_kernel _ZN2at6native12_GLOBAL__N_143conv_depthwise3d_cuda_backward_input_kernelIN3c108BFloat16EfLin1ELin1ELin1ELin1ELin1ELin1ELin1ELin1ELin1EEEvN5torch10headeronly6detail27GenericPackedTensorAccessorINS7_14TensorAccessorINS3_8ArrayRefIlEEKT_Lm4ENS6_16DefaultPtrTraitsEiEENS_6detail16IndexBoundsCheckILm5EiEESD_Lm5ESE_iEENS8_INS9_ISB_SC_Lm4ESE_iEESI_SC_Lm5ESE_iEESJ_iiiiiiiii
		.amdhsa_group_segment_fixed_size 0
		.amdhsa_private_segment_fixed_size 0
		.amdhsa_kernarg_size 440
		.amdhsa_user_sgpr_count 2
		.amdhsa_user_sgpr_dispatch_ptr 0
		.amdhsa_user_sgpr_queue_ptr 0
		.amdhsa_user_sgpr_kernarg_segment_ptr 1
		.amdhsa_user_sgpr_dispatch_id 0
		.amdhsa_user_sgpr_kernarg_preload_length 0
		.amdhsa_user_sgpr_kernarg_preload_offset 0
		.amdhsa_user_sgpr_private_segment_size 0
		.amdhsa_uses_dynamic_stack 0
		.amdhsa_enable_private_segment 0
		.amdhsa_system_sgpr_workgroup_id_x 1
		.amdhsa_system_sgpr_workgroup_id_y 0
		.amdhsa_system_sgpr_workgroup_id_z 0
		.amdhsa_system_sgpr_workgroup_info 0
		.amdhsa_system_vgpr_workitem_id 0
		.amdhsa_next_free_vgpr 35
		.amdhsa_next_free_sgpr 84
		.amdhsa_accum_offset 36
		.amdhsa_reserve_vcc 1
		.amdhsa_float_round_mode_32 0
		.amdhsa_float_round_mode_16_64 0
		.amdhsa_float_denorm_mode_32 3
		.amdhsa_float_denorm_mode_16_64 3
		.amdhsa_dx10_clamp 1
		.amdhsa_ieee_mode 1
		.amdhsa_fp16_overflow 0
		.amdhsa_tg_split 0
		.amdhsa_exception_fp_ieee_invalid_op 0
		.amdhsa_exception_fp_denorm_src 0
		.amdhsa_exception_fp_ieee_div_zero 0
		.amdhsa_exception_fp_ieee_overflow 0
		.amdhsa_exception_fp_ieee_underflow 0
		.amdhsa_exception_fp_ieee_inexact 0
		.amdhsa_exception_int_div_zero 0
	.end_amdhsa_kernel
	.section	.text._ZN2at6native12_GLOBAL__N_143conv_depthwise3d_cuda_backward_input_kernelIN3c108BFloat16EfLin1ELin1ELin1ELin1ELin1ELin1ELin1ELin1ELin1EEEvN5torch10headeronly6detail27GenericPackedTensorAccessorINS7_14TensorAccessorINS3_8ArrayRefIlEEKT_Lm4ENS6_16DefaultPtrTraitsEiEENS_6detail16IndexBoundsCheckILm5EiEESD_Lm5ESE_iEENS8_INS9_ISB_SC_Lm4ESE_iEESI_SC_Lm5ESE_iEESJ_iiiiiiiii,"axG",@progbits,_ZN2at6native12_GLOBAL__N_143conv_depthwise3d_cuda_backward_input_kernelIN3c108BFloat16EfLin1ELin1ELin1ELin1ELin1ELin1ELin1ELin1ELin1EEEvN5torch10headeronly6detail27GenericPackedTensorAccessorINS7_14TensorAccessorINS3_8ArrayRefIlEEKT_Lm4ENS6_16DefaultPtrTraitsEiEENS_6detail16IndexBoundsCheckILm5EiEESD_Lm5ESE_iEENS8_INS9_ISB_SC_Lm4ESE_iEESI_SC_Lm5ESE_iEESJ_iiiiiiiii,comdat
.Lfunc_end31:
	.size	_ZN2at6native12_GLOBAL__N_143conv_depthwise3d_cuda_backward_input_kernelIN3c108BFloat16EfLin1ELin1ELin1ELin1ELin1ELin1ELin1ELin1ELin1EEEvN5torch10headeronly6detail27GenericPackedTensorAccessorINS7_14TensorAccessorINS3_8ArrayRefIlEEKT_Lm4ENS6_16DefaultPtrTraitsEiEENS_6detail16IndexBoundsCheckILm5EiEESD_Lm5ESE_iEENS8_INS9_ISB_SC_Lm4ESE_iEESI_SC_Lm5ESE_iEESJ_iiiiiiiii, .Lfunc_end31-_ZN2at6native12_GLOBAL__N_143conv_depthwise3d_cuda_backward_input_kernelIN3c108BFloat16EfLin1ELin1ELin1ELin1ELin1ELin1ELin1ELin1ELin1EEEvN5torch10headeronly6detail27GenericPackedTensorAccessorINS7_14TensorAccessorINS3_8ArrayRefIlEEKT_Lm4ENS6_16DefaultPtrTraitsEiEENS_6detail16IndexBoundsCheckILm5EiEESD_Lm5ESE_iEENS8_INS9_ISB_SC_Lm4ESE_iEESI_SC_Lm5ESE_iEESJ_iiiiiiiii
                                        ; -- End function
	.set _ZN2at6native12_GLOBAL__N_143conv_depthwise3d_cuda_backward_input_kernelIN3c108BFloat16EfLin1ELin1ELin1ELin1ELin1ELin1ELin1ELin1ELin1EEEvN5torch10headeronly6detail27GenericPackedTensorAccessorINS7_14TensorAccessorINS3_8ArrayRefIlEEKT_Lm4ENS6_16DefaultPtrTraitsEiEENS_6detail16IndexBoundsCheckILm5EiEESD_Lm5ESE_iEENS8_INS9_ISB_SC_Lm4ESE_iEESI_SC_Lm5ESE_iEESJ_iiiiiiiii.num_vgpr, 35
	.set _ZN2at6native12_GLOBAL__N_143conv_depthwise3d_cuda_backward_input_kernelIN3c108BFloat16EfLin1ELin1ELin1ELin1ELin1ELin1ELin1ELin1ELin1EEEvN5torch10headeronly6detail27GenericPackedTensorAccessorINS7_14TensorAccessorINS3_8ArrayRefIlEEKT_Lm4ENS6_16DefaultPtrTraitsEiEENS_6detail16IndexBoundsCheckILm5EiEESD_Lm5ESE_iEENS8_INS9_ISB_SC_Lm4ESE_iEESI_SC_Lm5ESE_iEESJ_iiiiiiiii.num_agpr, 0
	.set _ZN2at6native12_GLOBAL__N_143conv_depthwise3d_cuda_backward_input_kernelIN3c108BFloat16EfLin1ELin1ELin1ELin1ELin1ELin1ELin1ELin1ELin1EEEvN5torch10headeronly6detail27GenericPackedTensorAccessorINS7_14TensorAccessorINS3_8ArrayRefIlEEKT_Lm4ENS6_16DefaultPtrTraitsEiEENS_6detail16IndexBoundsCheckILm5EiEESD_Lm5ESE_iEENS8_INS9_ISB_SC_Lm4ESE_iEESI_SC_Lm5ESE_iEESJ_iiiiiiiii.numbered_sgpr, 84
	.set _ZN2at6native12_GLOBAL__N_143conv_depthwise3d_cuda_backward_input_kernelIN3c108BFloat16EfLin1ELin1ELin1ELin1ELin1ELin1ELin1ELin1ELin1EEEvN5torch10headeronly6detail27GenericPackedTensorAccessorINS7_14TensorAccessorINS3_8ArrayRefIlEEKT_Lm4ENS6_16DefaultPtrTraitsEiEENS_6detail16IndexBoundsCheckILm5EiEESD_Lm5ESE_iEENS8_INS9_ISB_SC_Lm4ESE_iEESI_SC_Lm5ESE_iEESJ_iiiiiiiii.num_named_barrier, 0
	.set _ZN2at6native12_GLOBAL__N_143conv_depthwise3d_cuda_backward_input_kernelIN3c108BFloat16EfLin1ELin1ELin1ELin1ELin1ELin1ELin1ELin1ELin1EEEvN5torch10headeronly6detail27GenericPackedTensorAccessorINS7_14TensorAccessorINS3_8ArrayRefIlEEKT_Lm4ENS6_16DefaultPtrTraitsEiEENS_6detail16IndexBoundsCheckILm5EiEESD_Lm5ESE_iEENS8_INS9_ISB_SC_Lm4ESE_iEESI_SC_Lm5ESE_iEESJ_iiiiiiiii.private_seg_size, 0
	.set _ZN2at6native12_GLOBAL__N_143conv_depthwise3d_cuda_backward_input_kernelIN3c108BFloat16EfLin1ELin1ELin1ELin1ELin1ELin1ELin1ELin1ELin1EEEvN5torch10headeronly6detail27GenericPackedTensorAccessorINS7_14TensorAccessorINS3_8ArrayRefIlEEKT_Lm4ENS6_16DefaultPtrTraitsEiEENS_6detail16IndexBoundsCheckILm5EiEESD_Lm5ESE_iEENS8_INS9_ISB_SC_Lm4ESE_iEESI_SC_Lm5ESE_iEESJ_iiiiiiiii.uses_vcc, 1
	.set _ZN2at6native12_GLOBAL__N_143conv_depthwise3d_cuda_backward_input_kernelIN3c108BFloat16EfLin1ELin1ELin1ELin1ELin1ELin1ELin1ELin1ELin1EEEvN5torch10headeronly6detail27GenericPackedTensorAccessorINS7_14TensorAccessorINS3_8ArrayRefIlEEKT_Lm4ENS6_16DefaultPtrTraitsEiEENS_6detail16IndexBoundsCheckILm5EiEESD_Lm5ESE_iEENS8_INS9_ISB_SC_Lm4ESE_iEESI_SC_Lm5ESE_iEESJ_iiiiiiiii.uses_flat_scratch, 0
	.set _ZN2at6native12_GLOBAL__N_143conv_depthwise3d_cuda_backward_input_kernelIN3c108BFloat16EfLin1ELin1ELin1ELin1ELin1ELin1ELin1ELin1ELin1EEEvN5torch10headeronly6detail27GenericPackedTensorAccessorINS7_14TensorAccessorINS3_8ArrayRefIlEEKT_Lm4ENS6_16DefaultPtrTraitsEiEENS_6detail16IndexBoundsCheckILm5EiEESD_Lm5ESE_iEENS8_INS9_ISB_SC_Lm4ESE_iEESI_SC_Lm5ESE_iEESJ_iiiiiiiii.has_dyn_sized_stack, 0
	.set _ZN2at6native12_GLOBAL__N_143conv_depthwise3d_cuda_backward_input_kernelIN3c108BFloat16EfLin1ELin1ELin1ELin1ELin1ELin1ELin1ELin1ELin1EEEvN5torch10headeronly6detail27GenericPackedTensorAccessorINS7_14TensorAccessorINS3_8ArrayRefIlEEKT_Lm4ENS6_16DefaultPtrTraitsEiEENS_6detail16IndexBoundsCheckILm5EiEESD_Lm5ESE_iEENS8_INS9_ISB_SC_Lm4ESE_iEESI_SC_Lm5ESE_iEESJ_iiiiiiiii.has_recursion, 0
	.set _ZN2at6native12_GLOBAL__N_143conv_depthwise3d_cuda_backward_input_kernelIN3c108BFloat16EfLin1ELin1ELin1ELin1ELin1ELin1ELin1ELin1ELin1EEEvN5torch10headeronly6detail27GenericPackedTensorAccessorINS7_14TensorAccessorINS3_8ArrayRefIlEEKT_Lm4ENS6_16DefaultPtrTraitsEiEENS_6detail16IndexBoundsCheckILm5EiEESD_Lm5ESE_iEENS8_INS9_ISB_SC_Lm4ESE_iEESI_SC_Lm5ESE_iEESJ_iiiiiiiii.has_indirect_call, 0
	.section	.AMDGPU.csdata,"",@progbits
; Kernel info:
; codeLenInByte = 1956
; TotalNumSgprs: 90
; NumVgprs: 35
; NumAgprs: 0
; TotalNumVgprs: 35
; ScratchSize: 0
; MemoryBound: 0
; FloatMode: 240
; IeeeMode: 1
; LDSByteSize: 0 bytes/workgroup (compile time only)
; SGPRBlocks: 11
; VGPRBlocks: 4
; NumSGPRsForWavesPerEU: 90
; NumVGPRsForWavesPerEU: 35
; AccumOffset: 36
; Occupancy: 8
; WaveLimiterHint : 0
; COMPUTE_PGM_RSRC2:SCRATCH_EN: 0
; COMPUTE_PGM_RSRC2:USER_SGPR: 2
; COMPUTE_PGM_RSRC2:TRAP_HANDLER: 0
; COMPUTE_PGM_RSRC2:TGID_X_EN: 1
; COMPUTE_PGM_RSRC2:TGID_Y_EN: 0
; COMPUTE_PGM_RSRC2:TGID_Z_EN: 0
; COMPUTE_PGM_RSRC2:TIDIG_COMP_CNT: 0
; COMPUTE_PGM_RSRC3_GFX90A:ACCUM_OFFSET: 8
; COMPUTE_PGM_RSRC3_GFX90A:TG_SPLIT: 0
	.section	.text._ZN2at6native12_GLOBAL__N_144conv_depthwise3d_cuda_backward_weight_kernelIddLi1ELi1EEEvN5torch10headeronly6detail27GenericPackedTensorAccessorINS5_14TensorAccessorIN3c108ArrayRefIlEEKT_Lm4ENS4_16DefaultPtrTraitsEiEENS_6detail16IndexBoundsCheckILm5EiEESC_Lm5ESD_iEESI_NS6_INS7_ISA_SB_Lm4ESD_iEESH_SB_Lm5ESD_iEEiiiiiiiii,"axG",@progbits,_ZN2at6native12_GLOBAL__N_144conv_depthwise3d_cuda_backward_weight_kernelIddLi1ELi1EEEvN5torch10headeronly6detail27GenericPackedTensorAccessorINS5_14TensorAccessorIN3c108ArrayRefIlEEKT_Lm4ENS4_16DefaultPtrTraitsEiEENS_6detail16IndexBoundsCheckILm5EiEESC_Lm5ESD_iEESI_NS6_INS7_ISA_SB_Lm4ESD_iEESH_SB_Lm5ESD_iEEiiiiiiiii,comdat
	.globl	_ZN2at6native12_GLOBAL__N_144conv_depthwise3d_cuda_backward_weight_kernelIddLi1ELi1EEEvN5torch10headeronly6detail27GenericPackedTensorAccessorINS5_14TensorAccessorIN3c108ArrayRefIlEEKT_Lm4ENS4_16DefaultPtrTraitsEiEENS_6detail16IndexBoundsCheckILm5EiEESC_Lm5ESD_iEESI_NS6_INS7_ISA_SB_Lm4ESD_iEESH_SB_Lm5ESD_iEEiiiiiiiii ; -- Begin function _ZN2at6native12_GLOBAL__N_144conv_depthwise3d_cuda_backward_weight_kernelIddLi1ELi1EEEvN5torch10headeronly6detail27GenericPackedTensorAccessorINS5_14TensorAccessorIN3c108ArrayRefIlEEKT_Lm4ENS4_16DefaultPtrTraitsEiEENS_6detail16IndexBoundsCheckILm5EiEESC_Lm5ESD_iEESI_NS6_INS7_ISA_SB_Lm4ESD_iEESH_SB_Lm5ESD_iEEiiiiiiiii
	.p2align	8
	.type	_ZN2at6native12_GLOBAL__N_144conv_depthwise3d_cuda_backward_weight_kernelIddLi1ELi1EEEvN5torch10headeronly6detail27GenericPackedTensorAccessorINS5_14TensorAccessorIN3c108ArrayRefIlEEKT_Lm4ENS4_16DefaultPtrTraitsEiEENS_6detail16IndexBoundsCheckILm5EiEESC_Lm5ESD_iEESI_NS6_INS7_ISA_SB_Lm4ESD_iEESH_SB_Lm5ESD_iEEiiiiiiiii,@function
_ZN2at6native12_GLOBAL__N_144conv_depthwise3d_cuda_backward_weight_kernelIddLi1ELi1EEEvN5torch10headeronly6detail27GenericPackedTensorAccessorINS5_14TensorAccessorIN3c108ArrayRefIlEEKT_Lm4ENS4_16DefaultPtrTraitsEiEENS_6detail16IndexBoundsCheckILm5EiEESC_Lm5ESD_iEESI_NS6_INS7_ISA_SB_Lm4ESD_iEESH_SB_Lm5ESD_iEEiiiiiiiii: ; @_ZN2at6native12_GLOBAL__N_144conv_depthwise3d_cuda_backward_weight_kernelIddLi1ELi1EEEvN5torch10headeronly6detail27GenericPackedTensorAccessorINS5_14TensorAccessorIN3c108ArrayRefIlEEKT_Lm4ENS4_16DefaultPtrTraitsEiEENS_6detail16IndexBoundsCheckILm5EiEESC_Lm5ESD_iEESI_NS6_INS7_ISA_SB_Lm4ESD_iEESH_SB_Lm5ESD_iEEiiiiiiiii
; %bb.0:
	s_load_dwordx4 s[4:7], s[0:1], 0x70
	s_add_u32 s20, s0, 0x60
	s_addc_u32 s21, s1, 0
	s_load_dwordx4 s[12:15], s[0:1], 0x3c
	s_load_dwordx4 s[16:19], s[0:1], 0xc
	s_waitcnt lgkmcnt(0)
	v_cvt_f32_u32_e32 v1, s6
	v_cvt_f32_u32_e32 v2, s5
	s_sub_i32 s3, 0, s6
	v_rcp_iflag_f32_e32 v1, v1
	v_rcp_iflag_f32_e32 v2, v2
	v_mul_f32_e32 v1, 0x4f7ffffe, v1
	v_cvt_u32_f32_e32 v1, v1
	v_mul_f32_e32 v2, 0x4f7ffffe, v2
	v_cvt_u32_f32_e32 v2, v2
	v_readfirstlane_b32 s8, v1
	s_mul_i32 s3, s3, s8
	s_mul_hi_u32 s3, s8, s3
	s_add_i32 s8, s8, s3
	s_mul_hi_u32 s3, s2, s8
	s_mul_i32 s8, s3, s6
	s_sub_i32 s8, s2, s8
	s_add_i32 s10, s3, 1
	s_sub_i32 s11, s8, s6
	s_cmp_ge_u32 s8, s6
	s_cselect_b32 s3, s10, s3
	s_cselect_b32 s8, s11, s8
	s_add_i32 s10, s3, 1
	s_cmp_ge_u32 s8, s6
	v_cvt_f32_u32_e32 v1, s4
	v_readfirstlane_b32 s9, v2
	s_cselect_b32 s3, s10, s3
	s_sub_i32 s8, 0, s5
	s_mul_i32 s8, s8, s9
	s_mul_hi_u32 s8, s9, s8
	s_add_i32 s9, s9, s8
	v_rcp_iflag_f32_e32 v1, v1
	s_mul_hi_u32 s8, s3, s9
	s_mul_i32 s9, s8, s5
	s_sub_i32 s9, s3, s9
	s_add_i32 s10, s8, 1
	s_sub_i32 s11, s9, s5
	v_mul_f32_e32 v1, 0x4f7ffffe, v1
	s_cmp_ge_u32 s9, s5
	v_cvt_u32_f32_e32 v1, v1
	s_cselect_b32 s8, s10, s8
	s_cselect_b32 s9, s11, s9
	s_add_i32 s10, s8, 1
	s_cmp_ge_u32 s9, s5
	s_cselect_b32 s22, s10, s8
	s_sub_i32 s8, 0, s4
	v_readfirstlane_b32 s9, v1
	s_mul_i32 s8, s8, s9
	s_mul_hi_u32 s8, s9, s8
	s_add_i32 s9, s9, s8
	s_mul_hi_u32 s8, s22, s9
	s_mul_i32 s9, s8, s4
	s_sub_i32 s9, s22, s9
	s_add_i32 s10, s8, 1
	s_sub_i32 s11, s9, s4
	s_cmp_ge_u32 s9, s4
	s_cselect_b32 s8, s10, s8
	s_cselect_b32 s9, s11, s9
	s_add_i32 s10, s8, 1
	s_cmp_ge_u32 s9, s4
	s_cselect_b32 s33, s10, s8
	s_abs_i32 s8, s12
	v_cvt_f32_u32_e32 v1, s8
	s_xor_b32 s9, s16, s12
	s_sub_i32 s11, 0, s8
	s_abs_i32 s10, s16
	v_rcp_iflag_f32_e32 v1, v1
	s_ashr_i32 s9, s9, 31
	v_mul_f32_e32 v1, 0x4f7ffffe, v1
	v_cvt_u32_f32_e32 v1, v1
	s_nop 0
	v_readfirstlane_b32 s12, v1
	s_mul_i32 s11, s11, s12
	s_mul_hi_u32 s11, s12, s11
	s_add_i32 s12, s12, s11
	s_mul_hi_u32 s11, s10, s12
	s_mul_i32 s12, s11, s8
	s_sub_i32 s10, s10, s12
	s_add_i32 s12, s11, 1
	s_sub_i32 s16, s10, s8
	s_cmp_ge_u32 s10, s8
	s_cselect_b32 s11, s12, s11
	s_cselect_b32 s10, s16, s10
	s_add_i32 s12, s11, 1
	s_cmp_ge_u32 s10, s8
	s_cselect_b32 s8, s12, s11
	s_xor_b32 s8, s8, s9
	s_sub_i32 s24, s8, s9
	s_abs_i32 s23, s24
	v_cvt_f32_u32_e32 v1, s23
	s_load_dword s8, s[0:1], 0x68
	v_rcp_iflag_f32_e32 v1, v1
	s_waitcnt lgkmcnt(0)
	s_cmp_ge_i32 s33, s8
	v_mul_f32_e32 v1, 0x4f7ffffe, v1
	v_cvt_u32_f32_e32 v1, v1
	s_nop 0
	v_readfirstlane_b32 s25, v1
	s_cbranch_scc1 .LBB32_28
; %bb.1:
	s_mul_i32 s6, s3, s6
	s_sub_i32 s6, s2, s6
	s_mul_i32 s2, s22, s5
	s_load_dwordx2 s[34:35], s[20:21], 0x0
	s_load_dwordx4 s[8:11], s[20:21], 0x24
	s_sub_i32 s12, s3, s2
	s_load_dword s2, s[0:1], 0xc4
	s_load_dword s51, s[0:1], 0x38
	s_mul_i32 s3, s33, s4
	v_lshrrev_b32_e32 v1, 6, v0
	s_sub_i32 s16, s22, s3
	s_waitcnt lgkmcnt(0)
	s_and_b32 s50, s2, 0xffff
	s_mul_i32 s51, s51, s17
	v_cmp_gt_i32_e32 vcc, s51, v1
	v_mov_b64_e32 v[4:5], 0
	s_and_saveexec_b64 s[36:37], vcc
	s_cbranch_execz .LBB32_23
; %bb.2:
	s_sub_i32 s5, 0, s23
	s_mul_i32 s5, s5, s25
	s_mul_hi_u32 s5, s25, s5
	s_abs_i32 s4, s33
	s_add_i32 s25, s25, s5
	s_ashr_i32 s2, s33, 31
	s_ashr_i32 s3, s24, 31
	s_mul_hi_u32 s5, s4, s25
	s_xor_b32 s20, s2, s3
	s_mul_i32 s2, s5, s23
	s_sub_i32 s2, s4, s2
	s_lshr_b32 s52, s50, 6
	s_add_i32 s3, s5, 1
	s_sub_i32 s4, s2, s23
	s_cmp_ge_u32 s2, s23
	s_cselect_b32 s3, s3, s5
	s_cselect_b32 s2, s4, s2
	s_add_i32 s4, s3, 1
	s_cmp_ge_u32 s2, s23
	s_cselect_b32 s4, s4, s3
	s_abs_i32 s5, s17
	v_cvt_f32_u32_e32 v3, s5
	s_xor_b32 s4, s4, s20
	s_sub_i32 s42, s4, s20
	s_sub_i32 s4, 0, s5
	v_rcp_iflag_f32_e32 v3, v3
	s_load_dwordx4 s[28:31], s[0:1], 0x9c
	s_load_dwordx2 s[2:3], s[0:1], 0xac
	s_ashr_i32 s24, s17, 31
	v_and_b32_e32 v2, 63, v0
	v_mul_f32_e32 v3, 0x4f7ffffe, v3
	v_cvt_u32_f32_e32 v3, v3
	v_mul_lo_u32 v4, s4, v3
	v_mul_hi_u32 v4, v3, v4
	v_add_u32_e32 v3, v3, v4
	v_mul_hi_u32 v3, v1, v3
	v_mul_lo_u32 v4, v3, s5
	v_sub_u32_e32 v4, v1, v4
	v_add_u32_e32 v5, 1, v3
	v_cmp_le_u32_e32 vcc, s5, v4
	s_nop 1
	v_cndmask_b32_e32 v3, v3, v5, vcc
	v_subrev_u32_e32 v5, s5, v4
	v_cndmask_b32_e32 v4, v4, v5, vcc
	v_add_u32_e32 v5, 1, v3
	v_cmp_le_u32_e32 vcc, s5, v4
	s_load_dwordx2 s[4:5], s[0:1], 0x0
	s_load_dwordx4 s[20:23], s[0:1], 0x1c
	v_cndmask_b32_e32 v3, v3, v5, vcc
	v_xor_b32_e32 v3, s24, v3
	v_subrev_u32_e32 v15, s24, v3
	s_load_dwordx2 s[40:41], s[0:1], 0x30
	s_load_dwordx4 s[24:27], s[0:1], 0x4c
	s_waitcnt lgkmcnt(0)
	s_mul_i32 s38, s21, s33
	s_mul_i32 s23, s16, s31
	s_ashr_i32 s39, s38, 31
	s_sub_i32 s23, s23, s28
	s_lshl_b64 s[0:1], s[38:39], 3
	s_add_u32 s38, s4, s0
	s_mul_i32 s0, s25, s42
	s_addc_u32 s39, s5, s1
	s_ashr_i32 s1, s0, 31
	s_lshl_b64 s[0:1], s[0:1], 3
	s_add_u32 s40, s40, s0
	s_addc_u32 s41, s41, s1
	s_abs_i32 s0, s19
	v_cvt_f32_u32_e32 v4, s0
	s_mul_i32 s1, s6, s3
	s_sub_i32 s21, s1, s30
	s_mul_i32 s1, s12, s2
	v_rcp_iflag_f32_e32 v4, v4
	s_sub_i32 s2, 0, s0
	s_sub_i32 s25, s1, s29
	s_ashr_i32 s1, s19, 31
	v_mul_f32_e32 v4, 0x4f7ffffe, v4
	v_cvt_u32_f32_e32 v4, v4
	v_mul_lo_u32 v3, v15, s17
	v_sub_u32_e32 v16, v1, v3
	v_mov_b32_e32 v3, 0
	v_mul_lo_u32 v5, s2, v4
	v_mul_hi_u32 v5, v4, v5
	v_add_u32_e32 v4, v4, v5
	v_mul_hi_u32 v4, v2, v4
	v_mul_lo_u32 v5, v4, s0
	v_sub_u32_e32 v5, v2, v5
	v_add_u32_e32 v6, 1, v4
	v_cmp_le_u32_e32 vcc, s0, v5
	s_mov_b64 s[28:29], 0
	s_mov_b64 s[30:31], 0x200
	v_cndmask_b32_e32 v4, v4, v6, vcc
	v_subrev_u32_e32 v6, s0, v5
	v_cndmask_b32_e32 v5, v5, v6, vcc
	v_add_u32_e32 v6, 1, v4
	v_cmp_le_u32_e32 vcc, s0, v5
	s_nop 1
	v_cndmask_b32_e32 v4, v4, v6, vcc
	v_xor_b32_e32 v4, s1, v4
	v_subrev_u32_e32 v17, s1, v4
	v_mul_lo_u32 v4, v17, s19
	v_cmp_gt_i32_e32 vcc, s18, v17
	v_sub_u32_e32 v18, v2, v4
	v_mov_b64_e32 v[4:5], 0
	v_lshlrev_b32_e32 v2, 3, v2
	s_branch .LBB32_6
.LBB32_3:                               ;   in Loop: Header=BB32_6 Depth=1
	s_or_b64 exec, exec, s[46:47]
.LBB32_4:                               ;   in Loop: Header=BB32_6 Depth=1
	s_or_b64 exec, exec, s[44:45]
.LBB32_5:                               ;   in Loop: Header=BB32_6 Depth=1
	s_or_b64 exec, exec, s[42:43]
	v_add_u32_e32 v1, s52, v1
	v_cmp_le_i32_e64 s[0:1], s51, v1
	s_or_b64 s[28:29], s[0:1], s[28:29]
	v_add_u32_e32 v16, s52, v16
	s_andn2_b64 exec, exec, s[28:29]
	s_cbranch_execz .LBB32_22
.LBB32_6:                               ; =>This Loop Header: Depth=1
                                        ;     Child Loop BB32_8 Depth 2
                                        ;     Child Loop BB32_14 Depth 2
                                        ;       Child Loop BB32_20 Depth 3
	v_cmp_le_i32_e64 s[0:1], s17, v16
	s_and_saveexec_b64 s[2:3], s[0:1]
	s_cbranch_execz .LBB32_10
; %bb.7:                                ;   in Loop: Header=BB32_6 Depth=1
	s_mov_b64 s[4:5], 0
.LBB32_8:                               ;   Parent Loop BB32_6 Depth=1
                                        ; =>  This Inner Loop Header: Depth=2
	v_subrev_u32_e32 v16, s17, v16
	v_cmp_gt_i32_e64 s[0:1], s17, v16
	s_or_b64 s[4:5], s[0:1], s[4:5]
	v_add_u32_e32 v15, 1, v15
	s_andn2_b64 exec, exec, s[4:5]
	s_cbranch_execnz .LBB32_8
; %bb.9:                                ;   in Loop: Header=BB32_6 Depth=1
	s_or_b64 exec, exec, s[4:5]
.LBB32_10:                              ;   in Loop: Header=BB32_6 Depth=1
	s_or_b64 exec, exec, s[2:3]
	v_mul_lo_u32 v6, v16, s11
	v_add_u32_e32 v6, s23, v6
	v_cmp_lt_i32_e64 s[0:1], -1, v6
	v_cmp_gt_i32_e64 s[2:3], s13, v6
	s_and_b64 s[0:1], s[0:1], s[2:3]
	s_and_saveexec_b64 s[42:43], s[0:1]
	s_cbranch_execz .LBB32_5
; %bb.11:                               ;   in Loop: Header=BB32_6 Depth=1
	s_and_saveexec_b64 s[44:45], vcc
	s_cbranch_execz .LBB32_4
; %bb.12:                               ;   in Loop: Header=BB32_6 Depth=1
	v_mul_lo_u32 v8, s24, v15
	v_ashrrev_i32_e32 v9, 31, v8
	v_mul_lo_u32 v6, s26, v6
	v_lshl_add_u64 v[8:9], v[8:9], 3, s[40:41]
	v_ashrrev_i32_e32 v7, 31, v6
	v_lshl_add_u64 v[6:7], v[6:7], 3, v[8:9]
	v_mul_lo_u32 v8, s20, v15
	v_ashrrev_i32_e32 v9, 31, v8
	v_mul_lo_u32 v10, s22, v16
	v_lshl_add_u64 v[8:9], v[8:9], 3, s[38:39]
	v_ashrrev_i32_e32 v11, 31, v10
	v_lshl_add_u64 v[8:9], v[10:11], 3, v[8:9]
	v_lshl_add_u64 v[8:9], v[8:9], 0, v[2:3]
	s_mov_b64 s[46:47], 0
	v_mov_b32_e32 v19, v18
	v_mov_b32_e32 v20, v17
	s_branch .LBB32_14
.LBB32_13:                              ;   in Loop: Header=BB32_14 Depth=2
	s_or_b64 exec, exec, s[2:3]
	v_cmp_le_i32_e64 s[0:1], s18, v20
	v_lshl_add_u64 v[8:9], v[8:9], 0, s[30:31]
	s_or_b64 s[46:47], s[0:1], s[46:47]
	s_waitcnt vmcnt(0)
	v_fmac_f64_e32 v[4:5], v[10:11], v[12:13]
	s_andn2_b64 exec, exec, s[46:47]
	s_cbranch_execz .LBB32_3
.LBB32_14:                              ;   Parent Loop BB32_6 Depth=1
                                        ; =>  This Loop Header: Depth=2
                                        ;       Child Loop BB32_20 Depth 3
	global_load_dwordx2 v[10:11], v[8:9], off
	v_add_u32_e32 v14, s21, v19
	v_cmp_lt_i32_e64 s[0:1], -1, v14
	v_mov_b64_e32 v[12:13], 0
	s_and_saveexec_b64 s[48:49], s[0:1]
	s_cbranch_execz .LBB32_18
; %bb.15:                               ;   in Loop: Header=BB32_14 Depth=2
	v_add_u32_e32 v21, s25, v20
	v_cmp_gt_i32_e64 s[0:1], s15, v14
	v_cmp_gt_i32_e64 s[4:5], s14, v21
	v_cmp_lt_i32_e64 s[2:3], -1, v21
	s_and_b64 s[0:1], s[0:1], s[4:5]
	s_and_b64 s[2:3], s[0:1], s[2:3]
	v_mov_b64_e32 v[12:13], 0
	s_and_saveexec_b64 s[0:1], s[2:3]
	s_cbranch_execz .LBB32_17
; %bb.16:                               ;   in Loop: Header=BB32_14 Depth=2
	v_mad_u64_u32 v[12:13], s[2:3], v21, s15, v[14:15]
	v_mov_b32_e32 v13, v3
	v_lshl_add_u64 v[12:13], v[12:13], 3, v[6:7]
	global_load_dwordx2 v[12:13], v[12:13], off
.LBB32_17:                              ;   in Loop: Header=BB32_14 Depth=2
	s_or_b64 exec, exec, s[0:1]
.LBB32_18:                              ;   in Loop: Header=BB32_14 Depth=2
	s_or_b64 exec, exec, s[48:49]
	v_add_u32_e32 v19, 64, v19
	v_cmp_le_i32_e64 s[0:1], s19, v19
	s_and_saveexec_b64 s[2:3], s[0:1]
	s_cbranch_execz .LBB32_13
; %bb.19:                               ;   in Loop: Header=BB32_14 Depth=2
	s_mov_b64 s[4:5], 0
.LBB32_20:                              ;   Parent Loop BB32_6 Depth=1
                                        ;     Parent Loop BB32_14 Depth=2
                                        ; =>    This Inner Loop Header: Depth=3
	v_subrev_u32_e32 v19, s19, v19
	v_cmp_gt_i32_e64 s[0:1], s19, v19
	s_or_b64 s[4:5], s[0:1], s[4:5]
	v_add_u32_e32 v20, 1, v20
	s_andn2_b64 exec, exec, s[4:5]
	s_cbranch_execnz .LBB32_20
; %bb.21:                               ;   in Loop: Header=BB32_14 Depth=2
	s_or_b64 exec, exec, s[4:5]
	s_branch .LBB32_13
.LBB32_22:
	s_or_b64 exec, exec, s[28:29]
.LBB32_23:
	s_or_b64 exec, exec, s[36:37]
	s_bcnt1_i32_b32 s0, s50
	v_lshl_add_u32 v1, v0, 3, 0
	s_cmp_lg_u32 s0, 1
	s_mov_b64 s[0:1], -1
	ds_write_b64 v1, v[4:5]
	s_waitcnt lgkmcnt(0)
	s_barrier
	s_cbranch_scc1 .LBB32_32
; %bb.24:
	s_andn2_b64 vcc, exec, s[0:1]
	s_cbranch_vccnz .LBB32_28
.LBB32_25:
	s_cmp_lt_u32 s50, 2
	s_cbranch_scc0 .LBB32_30
.LBB32_26:
	v_cmp_eq_u32_e32 vcc, 0, v0
	s_and_saveexec_b64 s[0:1], vcc
	s_cbranch_execz .LBB32_28
; %bb.27:
	s_mul_i32 s0, s7, s33
	s_ashr_i32 s1, s0, 31
	s_lshl_b64 s[0:1], s[0:1], 3
	s_add_u32 s2, s34, s0
	s_mul_i32 s0, s8, s16
	s_addc_u32 s3, s35, s1
	s_ashr_i32 s1, s0, 31
	s_lshl_b64 s[0:1], s[0:1], 3
	s_add_u32 s2, s2, s0
	s_mul_i32 s0, s9, s12
	s_addc_u32 s3, s3, s1
	s_ashr_i32 s1, s0, 31
	s_lshl_b64 s[0:1], s[0:1], 3
	v_mov_b32_e32 v2, 0
	s_add_u32 s2, s2, s0
	s_mul_i32 s0, s10, s6
	ds_read_b64 v[0:1], v2
	s_addc_u32 s3, s3, s1
	s_ashr_i32 s1, s0, 31
	s_lshl_b64 s[0:1], s[0:1], 3
	s_add_u32 s0, s2, s0
	s_addc_u32 s1, s3, s1
	s_waitcnt lgkmcnt(0)
	global_store_dwordx2 v2, v[0:1], s[0:1]
.LBB32_28:
	s_endpgm
.LBB32_29:                              ;   in Loop: Header=BB32_30 Depth=1
	s_or_b64 exec, exec, s[0:1]
	s_cmp_lt_u32 s50, 4
	s_mov_b32 s50, s2
	s_waitcnt lgkmcnt(0)
	s_barrier
	s_cbranch_scc1 .LBB32_26
.LBB32_30:                              ; =>This Inner Loop Header: Depth=1
	s_lshr_b32 s2, s50, 1
	v_cmp_gt_u32_e32 vcc, s2, v0
	s_and_saveexec_b64 s[0:1], vcc
	s_cbranch_execz .LBB32_29
; %bb.31:                               ;   in Loop: Header=BB32_30 Depth=1
	v_lshl_add_u32 v2, s2, 3, v1
	ds_read_b64 v[2:3], v2
	ds_read_b64 v[4:5], v1
	s_waitcnt lgkmcnt(0)
	v_add_f64 v[2:3], v[2:3], v[4:5]
	ds_write_b64 v1, v[2:3]
	s_branch .LBB32_29
.LBB32_32:
	s_trap 2
	; divergent unreachable
	s_cbranch_execz .LBB32_25
	s_branch .LBB32_28
	.section	.rodata,"a",@progbits
	.p2align	6, 0x0
	.amdhsa_kernel _ZN2at6native12_GLOBAL__N_144conv_depthwise3d_cuda_backward_weight_kernelIddLi1ELi1EEEvN5torch10headeronly6detail27GenericPackedTensorAccessorINS5_14TensorAccessorIN3c108ArrayRefIlEEKT_Lm4ENS4_16DefaultPtrTraitsEiEENS_6detail16IndexBoundsCheckILm5EiEESC_Lm5ESD_iEESI_NS6_INS7_ISA_SB_Lm4ESD_iEESH_SB_Lm5ESD_iEEiiiiiiiii
		.amdhsa_group_segment_fixed_size 0
		.amdhsa_private_segment_fixed_size 0
		.amdhsa_kernarg_size 440
		.amdhsa_user_sgpr_count 2
		.amdhsa_user_sgpr_dispatch_ptr 0
		.amdhsa_user_sgpr_queue_ptr 0
		.amdhsa_user_sgpr_kernarg_segment_ptr 1
		.amdhsa_user_sgpr_dispatch_id 0
		.amdhsa_user_sgpr_kernarg_preload_length 0
		.amdhsa_user_sgpr_kernarg_preload_offset 0
		.amdhsa_user_sgpr_private_segment_size 0
		.amdhsa_uses_dynamic_stack 0
		.amdhsa_enable_private_segment 0
		.amdhsa_system_sgpr_workgroup_id_x 1
		.amdhsa_system_sgpr_workgroup_id_y 0
		.amdhsa_system_sgpr_workgroup_id_z 0
		.amdhsa_system_sgpr_workgroup_info 0
		.amdhsa_system_vgpr_workitem_id 0
		.amdhsa_next_free_vgpr 22
		.amdhsa_next_free_sgpr 53
		.amdhsa_accum_offset 24
		.amdhsa_reserve_vcc 1
		.amdhsa_float_round_mode_32 0
		.amdhsa_float_round_mode_16_64 0
		.amdhsa_float_denorm_mode_32 3
		.amdhsa_float_denorm_mode_16_64 3
		.amdhsa_dx10_clamp 1
		.amdhsa_ieee_mode 1
		.amdhsa_fp16_overflow 0
		.amdhsa_tg_split 0
		.amdhsa_exception_fp_ieee_invalid_op 0
		.amdhsa_exception_fp_denorm_src 0
		.amdhsa_exception_fp_ieee_div_zero 0
		.amdhsa_exception_fp_ieee_overflow 0
		.amdhsa_exception_fp_ieee_underflow 0
		.amdhsa_exception_fp_ieee_inexact 0
		.amdhsa_exception_int_div_zero 0
	.end_amdhsa_kernel
	.section	.text._ZN2at6native12_GLOBAL__N_144conv_depthwise3d_cuda_backward_weight_kernelIddLi1ELi1EEEvN5torch10headeronly6detail27GenericPackedTensorAccessorINS5_14TensorAccessorIN3c108ArrayRefIlEEKT_Lm4ENS4_16DefaultPtrTraitsEiEENS_6detail16IndexBoundsCheckILm5EiEESC_Lm5ESD_iEESI_NS6_INS7_ISA_SB_Lm4ESD_iEESH_SB_Lm5ESD_iEEiiiiiiiii,"axG",@progbits,_ZN2at6native12_GLOBAL__N_144conv_depthwise3d_cuda_backward_weight_kernelIddLi1ELi1EEEvN5torch10headeronly6detail27GenericPackedTensorAccessorINS5_14TensorAccessorIN3c108ArrayRefIlEEKT_Lm4ENS4_16DefaultPtrTraitsEiEENS_6detail16IndexBoundsCheckILm5EiEESC_Lm5ESD_iEESI_NS6_INS7_ISA_SB_Lm4ESD_iEESH_SB_Lm5ESD_iEEiiiiiiiii,comdat
.Lfunc_end32:
	.size	_ZN2at6native12_GLOBAL__N_144conv_depthwise3d_cuda_backward_weight_kernelIddLi1ELi1EEEvN5torch10headeronly6detail27GenericPackedTensorAccessorINS5_14TensorAccessorIN3c108ArrayRefIlEEKT_Lm4ENS4_16DefaultPtrTraitsEiEENS_6detail16IndexBoundsCheckILm5EiEESC_Lm5ESD_iEESI_NS6_INS7_ISA_SB_Lm4ESD_iEESH_SB_Lm5ESD_iEEiiiiiiiii, .Lfunc_end32-_ZN2at6native12_GLOBAL__N_144conv_depthwise3d_cuda_backward_weight_kernelIddLi1ELi1EEEvN5torch10headeronly6detail27GenericPackedTensorAccessorINS5_14TensorAccessorIN3c108ArrayRefIlEEKT_Lm4ENS4_16DefaultPtrTraitsEiEENS_6detail16IndexBoundsCheckILm5EiEESC_Lm5ESD_iEESI_NS6_INS7_ISA_SB_Lm4ESD_iEESH_SB_Lm5ESD_iEEiiiiiiiii
                                        ; -- End function
	.set _ZN2at6native12_GLOBAL__N_144conv_depthwise3d_cuda_backward_weight_kernelIddLi1ELi1EEEvN5torch10headeronly6detail27GenericPackedTensorAccessorINS5_14TensorAccessorIN3c108ArrayRefIlEEKT_Lm4ENS4_16DefaultPtrTraitsEiEENS_6detail16IndexBoundsCheckILm5EiEESC_Lm5ESD_iEESI_NS6_INS7_ISA_SB_Lm4ESD_iEESH_SB_Lm5ESD_iEEiiiiiiiii.num_vgpr, 22
	.set _ZN2at6native12_GLOBAL__N_144conv_depthwise3d_cuda_backward_weight_kernelIddLi1ELi1EEEvN5torch10headeronly6detail27GenericPackedTensorAccessorINS5_14TensorAccessorIN3c108ArrayRefIlEEKT_Lm4ENS4_16DefaultPtrTraitsEiEENS_6detail16IndexBoundsCheckILm5EiEESC_Lm5ESD_iEESI_NS6_INS7_ISA_SB_Lm4ESD_iEESH_SB_Lm5ESD_iEEiiiiiiiii.num_agpr, 0
	.set _ZN2at6native12_GLOBAL__N_144conv_depthwise3d_cuda_backward_weight_kernelIddLi1ELi1EEEvN5torch10headeronly6detail27GenericPackedTensorAccessorINS5_14TensorAccessorIN3c108ArrayRefIlEEKT_Lm4ENS4_16DefaultPtrTraitsEiEENS_6detail16IndexBoundsCheckILm5EiEESC_Lm5ESD_iEESI_NS6_INS7_ISA_SB_Lm4ESD_iEESH_SB_Lm5ESD_iEEiiiiiiiii.numbered_sgpr, 53
	.set _ZN2at6native12_GLOBAL__N_144conv_depthwise3d_cuda_backward_weight_kernelIddLi1ELi1EEEvN5torch10headeronly6detail27GenericPackedTensorAccessorINS5_14TensorAccessorIN3c108ArrayRefIlEEKT_Lm4ENS4_16DefaultPtrTraitsEiEENS_6detail16IndexBoundsCheckILm5EiEESC_Lm5ESD_iEESI_NS6_INS7_ISA_SB_Lm4ESD_iEESH_SB_Lm5ESD_iEEiiiiiiiii.num_named_barrier, 0
	.set _ZN2at6native12_GLOBAL__N_144conv_depthwise3d_cuda_backward_weight_kernelIddLi1ELi1EEEvN5torch10headeronly6detail27GenericPackedTensorAccessorINS5_14TensorAccessorIN3c108ArrayRefIlEEKT_Lm4ENS4_16DefaultPtrTraitsEiEENS_6detail16IndexBoundsCheckILm5EiEESC_Lm5ESD_iEESI_NS6_INS7_ISA_SB_Lm4ESD_iEESH_SB_Lm5ESD_iEEiiiiiiiii.private_seg_size, 0
	.set _ZN2at6native12_GLOBAL__N_144conv_depthwise3d_cuda_backward_weight_kernelIddLi1ELi1EEEvN5torch10headeronly6detail27GenericPackedTensorAccessorINS5_14TensorAccessorIN3c108ArrayRefIlEEKT_Lm4ENS4_16DefaultPtrTraitsEiEENS_6detail16IndexBoundsCheckILm5EiEESC_Lm5ESD_iEESI_NS6_INS7_ISA_SB_Lm4ESD_iEESH_SB_Lm5ESD_iEEiiiiiiiii.uses_vcc, 1
	.set _ZN2at6native12_GLOBAL__N_144conv_depthwise3d_cuda_backward_weight_kernelIddLi1ELi1EEEvN5torch10headeronly6detail27GenericPackedTensorAccessorINS5_14TensorAccessorIN3c108ArrayRefIlEEKT_Lm4ENS4_16DefaultPtrTraitsEiEENS_6detail16IndexBoundsCheckILm5EiEESC_Lm5ESD_iEESI_NS6_INS7_ISA_SB_Lm4ESD_iEESH_SB_Lm5ESD_iEEiiiiiiiii.uses_flat_scratch, 0
	.set _ZN2at6native12_GLOBAL__N_144conv_depthwise3d_cuda_backward_weight_kernelIddLi1ELi1EEEvN5torch10headeronly6detail27GenericPackedTensorAccessorINS5_14TensorAccessorIN3c108ArrayRefIlEEKT_Lm4ENS4_16DefaultPtrTraitsEiEENS_6detail16IndexBoundsCheckILm5EiEESC_Lm5ESD_iEESI_NS6_INS7_ISA_SB_Lm4ESD_iEESH_SB_Lm5ESD_iEEiiiiiiiii.has_dyn_sized_stack, 0
	.set _ZN2at6native12_GLOBAL__N_144conv_depthwise3d_cuda_backward_weight_kernelIddLi1ELi1EEEvN5torch10headeronly6detail27GenericPackedTensorAccessorINS5_14TensorAccessorIN3c108ArrayRefIlEEKT_Lm4ENS4_16DefaultPtrTraitsEiEENS_6detail16IndexBoundsCheckILm5EiEESC_Lm5ESD_iEESI_NS6_INS7_ISA_SB_Lm4ESD_iEESH_SB_Lm5ESD_iEEiiiiiiiii.has_recursion, 0
	.set _ZN2at6native12_GLOBAL__N_144conv_depthwise3d_cuda_backward_weight_kernelIddLi1ELi1EEEvN5torch10headeronly6detail27GenericPackedTensorAccessorINS5_14TensorAccessorIN3c108ArrayRefIlEEKT_Lm4ENS4_16DefaultPtrTraitsEiEENS_6detail16IndexBoundsCheckILm5EiEESC_Lm5ESD_iEESI_NS6_INS7_ISA_SB_Lm4ESD_iEESH_SB_Lm5ESD_iEEiiiiiiiii.has_indirect_call, 0
	.section	.AMDGPU.csdata,"",@progbits
; Kernel info:
; codeLenInByte = 1792
; TotalNumSgprs: 59
; NumVgprs: 22
; NumAgprs: 0
; TotalNumVgprs: 22
; ScratchSize: 0
; MemoryBound: 0
; FloatMode: 240
; IeeeMode: 1
; LDSByteSize: 0 bytes/workgroup (compile time only)
; SGPRBlocks: 7
; VGPRBlocks: 2
; NumSGPRsForWavesPerEU: 59
; NumVGPRsForWavesPerEU: 22
; AccumOffset: 24
; Occupancy: 8
; WaveLimiterHint : 1
; COMPUTE_PGM_RSRC2:SCRATCH_EN: 0
; COMPUTE_PGM_RSRC2:USER_SGPR: 2
; COMPUTE_PGM_RSRC2:TRAP_HANDLER: 0
; COMPUTE_PGM_RSRC2:TGID_X_EN: 1
; COMPUTE_PGM_RSRC2:TGID_Y_EN: 0
; COMPUTE_PGM_RSRC2:TGID_Z_EN: 0
; COMPUTE_PGM_RSRC2:TIDIG_COMP_CNT: 0
; COMPUTE_PGM_RSRC3_GFX90A:ACCUM_OFFSET: 5
; COMPUTE_PGM_RSRC3_GFX90A:TG_SPLIT: 0
	.section	.text._ZN2at6native12_GLOBAL__N_144conv_depthwise3d_cuda_backward_weight_kernelIddLi2ELi2EEEvN5torch10headeronly6detail27GenericPackedTensorAccessorINS5_14TensorAccessorIN3c108ArrayRefIlEEKT_Lm4ENS4_16DefaultPtrTraitsEiEENS_6detail16IndexBoundsCheckILm5EiEESC_Lm5ESD_iEESI_NS6_INS7_ISA_SB_Lm4ESD_iEESH_SB_Lm5ESD_iEEiiiiiiiii,"axG",@progbits,_ZN2at6native12_GLOBAL__N_144conv_depthwise3d_cuda_backward_weight_kernelIddLi2ELi2EEEvN5torch10headeronly6detail27GenericPackedTensorAccessorINS5_14TensorAccessorIN3c108ArrayRefIlEEKT_Lm4ENS4_16DefaultPtrTraitsEiEENS_6detail16IndexBoundsCheckILm5EiEESC_Lm5ESD_iEESI_NS6_INS7_ISA_SB_Lm4ESD_iEESH_SB_Lm5ESD_iEEiiiiiiiii,comdat
	.globl	_ZN2at6native12_GLOBAL__N_144conv_depthwise3d_cuda_backward_weight_kernelIddLi2ELi2EEEvN5torch10headeronly6detail27GenericPackedTensorAccessorINS5_14TensorAccessorIN3c108ArrayRefIlEEKT_Lm4ENS4_16DefaultPtrTraitsEiEENS_6detail16IndexBoundsCheckILm5EiEESC_Lm5ESD_iEESI_NS6_INS7_ISA_SB_Lm4ESD_iEESH_SB_Lm5ESD_iEEiiiiiiiii ; -- Begin function _ZN2at6native12_GLOBAL__N_144conv_depthwise3d_cuda_backward_weight_kernelIddLi2ELi2EEEvN5torch10headeronly6detail27GenericPackedTensorAccessorINS5_14TensorAccessorIN3c108ArrayRefIlEEKT_Lm4ENS4_16DefaultPtrTraitsEiEENS_6detail16IndexBoundsCheckILm5EiEESC_Lm5ESD_iEESI_NS6_INS7_ISA_SB_Lm4ESD_iEESH_SB_Lm5ESD_iEEiiiiiiiii
	.p2align	8
	.type	_ZN2at6native12_GLOBAL__N_144conv_depthwise3d_cuda_backward_weight_kernelIddLi2ELi2EEEvN5torch10headeronly6detail27GenericPackedTensorAccessorINS5_14TensorAccessorIN3c108ArrayRefIlEEKT_Lm4ENS4_16DefaultPtrTraitsEiEENS_6detail16IndexBoundsCheckILm5EiEESC_Lm5ESD_iEESI_NS6_INS7_ISA_SB_Lm4ESD_iEESH_SB_Lm5ESD_iEEiiiiiiiii,@function
_ZN2at6native12_GLOBAL__N_144conv_depthwise3d_cuda_backward_weight_kernelIddLi2ELi2EEEvN5torch10headeronly6detail27GenericPackedTensorAccessorINS5_14TensorAccessorIN3c108ArrayRefIlEEKT_Lm4ENS4_16DefaultPtrTraitsEiEENS_6detail16IndexBoundsCheckILm5EiEESC_Lm5ESD_iEESI_NS6_INS7_ISA_SB_Lm4ESD_iEESH_SB_Lm5ESD_iEEiiiiiiiii: ; @_ZN2at6native12_GLOBAL__N_144conv_depthwise3d_cuda_backward_weight_kernelIddLi2ELi2EEEvN5torch10headeronly6detail27GenericPackedTensorAccessorINS5_14TensorAccessorIN3c108ArrayRefIlEEKT_Lm4ENS4_16DefaultPtrTraitsEiEENS_6detail16IndexBoundsCheckILm5EiEESC_Lm5ESD_iEESI_NS6_INS7_ISA_SB_Lm4ESD_iEESH_SB_Lm5ESD_iEEiiiiiiiii
; %bb.0:
	s_load_dwordx4 s[4:7], s[0:1], 0x70
	s_add_u32 s20, s0, 0x60
	s_addc_u32 s21, s1, 0
	s_load_dwordx4 s[12:15], s[0:1], 0x3c
	s_load_dwordx4 s[16:19], s[0:1], 0xc
	s_waitcnt lgkmcnt(0)
	v_cvt_f32_u32_e32 v1, s6
	v_cvt_f32_u32_e32 v2, s5
	s_sub_i32 s3, 0, s6
	v_rcp_iflag_f32_e32 v1, v1
	v_rcp_iflag_f32_e32 v2, v2
	v_mul_f32_e32 v1, 0x4f7ffffe, v1
	v_cvt_u32_f32_e32 v1, v1
	v_mul_f32_e32 v2, 0x4f7ffffe, v2
	v_cvt_u32_f32_e32 v2, v2
	v_readfirstlane_b32 s8, v1
	s_mul_i32 s3, s3, s8
	s_mul_hi_u32 s3, s8, s3
	s_add_i32 s8, s8, s3
	s_mul_hi_u32 s3, s2, s8
	s_mul_i32 s8, s3, s6
	s_sub_i32 s8, s2, s8
	s_add_i32 s10, s3, 1
	s_sub_i32 s11, s8, s6
	s_cmp_ge_u32 s8, s6
	s_cselect_b32 s3, s10, s3
	s_cselect_b32 s8, s11, s8
	s_add_i32 s10, s3, 1
	s_cmp_ge_u32 s8, s6
	v_cvt_f32_u32_e32 v1, s4
	v_readfirstlane_b32 s9, v2
	s_cselect_b32 s3, s10, s3
	s_sub_i32 s8, 0, s5
	s_mul_i32 s8, s8, s9
	s_mul_hi_u32 s8, s9, s8
	s_add_i32 s9, s9, s8
	v_rcp_iflag_f32_e32 v1, v1
	s_mul_hi_u32 s8, s3, s9
	s_mul_i32 s9, s8, s5
	s_sub_i32 s9, s3, s9
	s_add_i32 s10, s8, 1
	s_sub_i32 s11, s9, s5
	v_mul_f32_e32 v1, 0x4f7ffffe, v1
	s_cmp_ge_u32 s9, s5
	v_cvt_u32_f32_e32 v1, v1
	s_cselect_b32 s8, s10, s8
	s_cselect_b32 s9, s11, s9
	s_add_i32 s10, s8, 1
	s_cmp_ge_u32 s9, s5
	s_cselect_b32 s22, s10, s8
	s_sub_i32 s8, 0, s4
	v_readfirstlane_b32 s9, v1
	s_mul_i32 s8, s8, s9
	s_mul_hi_u32 s8, s9, s8
	s_add_i32 s9, s9, s8
	s_mul_hi_u32 s8, s22, s9
	s_mul_i32 s9, s8, s4
	s_sub_i32 s9, s22, s9
	s_add_i32 s10, s8, 1
	s_sub_i32 s11, s9, s4
	s_cmp_ge_u32 s9, s4
	s_cselect_b32 s8, s10, s8
	s_cselect_b32 s9, s11, s9
	s_add_i32 s10, s8, 1
	s_cmp_ge_u32 s9, s4
	s_cselect_b32 s33, s10, s8
	s_abs_i32 s8, s12
	v_cvt_f32_u32_e32 v1, s8
	s_xor_b32 s9, s16, s12
	s_sub_i32 s11, 0, s8
	s_abs_i32 s10, s16
	v_rcp_iflag_f32_e32 v1, v1
	s_ashr_i32 s9, s9, 31
	v_mul_f32_e32 v1, 0x4f7ffffe, v1
	v_cvt_u32_f32_e32 v1, v1
	s_nop 0
	v_readfirstlane_b32 s12, v1
	s_mul_i32 s11, s11, s12
	s_mul_hi_u32 s11, s12, s11
	s_add_i32 s12, s12, s11
	s_mul_hi_u32 s11, s10, s12
	s_mul_i32 s12, s11, s8
	s_sub_i32 s10, s10, s12
	s_add_i32 s12, s11, 1
	s_sub_i32 s16, s10, s8
	s_cmp_ge_u32 s10, s8
	s_cselect_b32 s11, s12, s11
	s_cselect_b32 s10, s16, s10
	s_add_i32 s12, s11, 1
	s_cmp_ge_u32 s10, s8
	s_cselect_b32 s8, s12, s11
	s_xor_b32 s8, s8, s9
	s_sub_i32 s24, s8, s9
	s_abs_i32 s23, s24
	v_cvt_f32_u32_e32 v1, s23
	s_load_dword s8, s[0:1], 0x68
	v_rcp_iflag_f32_e32 v1, v1
	s_waitcnt lgkmcnt(0)
	s_cmp_ge_i32 s33, s8
	v_mul_f32_e32 v1, 0x4f7ffffe, v1
	v_cvt_u32_f32_e32 v1, v1
	s_nop 0
	v_readfirstlane_b32 s25, v1
	s_cbranch_scc1 .LBB33_28
; %bb.1:
	s_mul_i32 s6, s3, s6
	s_sub_i32 s6, s2, s6
	s_mul_i32 s2, s22, s5
	s_load_dwordx2 s[34:35], s[20:21], 0x0
	s_load_dwordx4 s[8:11], s[20:21], 0x24
	s_sub_i32 s12, s3, s2
	s_load_dword s2, s[0:1], 0xc4
	s_load_dword s51, s[0:1], 0x38
	s_mul_i32 s3, s33, s4
	v_lshrrev_b32_e32 v1, 6, v0
	s_sub_i32 s16, s22, s3
	s_waitcnt lgkmcnt(0)
	s_and_b32 s50, s2, 0xffff
	s_mul_i32 s51, s51, s17
	v_cmp_gt_i32_e32 vcc, s51, v1
	v_mov_b64_e32 v[4:5], 0
	s_and_saveexec_b64 s[36:37], vcc
	s_cbranch_execz .LBB33_23
; %bb.2:
	s_sub_i32 s5, 0, s23
	s_mul_i32 s5, s5, s25
	s_mul_hi_u32 s5, s25, s5
	s_abs_i32 s4, s33
	s_add_i32 s25, s25, s5
	s_ashr_i32 s2, s33, 31
	s_ashr_i32 s3, s24, 31
	s_mul_hi_u32 s5, s4, s25
	s_xor_b32 s20, s2, s3
	s_mul_i32 s2, s5, s23
	s_sub_i32 s2, s4, s2
	s_lshr_b32 s52, s50, 6
	s_add_i32 s3, s5, 1
	s_sub_i32 s4, s2, s23
	s_cmp_ge_u32 s2, s23
	s_cselect_b32 s3, s3, s5
	s_cselect_b32 s2, s4, s2
	s_add_i32 s4, s3, 1
	s_cmp_ge_u32 s2, s23
	s_cselect_b32 s4, s4, s3
	s_abs_i32 s5, s17
	v_cvt_f32_u32_e32 v3, s5
	s_xor_b32 s4, s4, s20
	s_sub_i32 s42, s4, s20
	s_sub_i32 s4, 0, s5
	v_rcp_iflag_f32_e32 v3, v3
	s_load_dwordx4 s[28:31], s[0:1], 0x9c
	s_load_dwordx2 s[2:3], s[0:1], 0xac
	s_ashr_i32 s24, s17, 31
	v_and_b32_e32 v2, 63, v0
	v_mul_f32_e32 v3, 0x4f7ffffe, v3
	v_cvt_u32_f32_e32 v3, v3
	v_mul_lo_u32 v4, s4, v3
	v_mul_hi_u32 v4, v3, v4
	v_add_u32_e32 v3, v3, v4
	v_mul_hi_u32 v3, v1, v3
	v_mul_lo_u32 v4, v3, s5
	v_sub_u32_e32 v4, v1, v4
	v_add_u32_e32 v5, 1, v3
	v_cmp_le_u32_e32 vcc, s5, v4
	s_nop 1
	v_cndmask_b32_e32 v3, v3, v5, vcc
	v_subrev_u32_e32 v5, s5, v4
	v_cndmask_b32_e32 v4, v4, v5, vcc
	v_add_u32_e32 v5, 1, v3
	v_cmp_le_u32_e32 vcc, s5, v4
	s_load_dwordx2 s[4:5], s[0:1], 0x0
	s_load_dwordx4 s[20:23], s[0:1], 0x1c
	v_cndmask_b32_e32 v3, v3, v5, vcc
	v_xor_b32_e32 v3, s24, v3
	v_subrev_u32_e32 v15, s24, v3
	s_load_dwordx2 s[40:41], s[0:1], 0x30
	s_load_dwordx4 s[24:27], s[0:1], 0x4c
	s_waitcnt lgkmcnt(0)
	s_mul_i32 s38, s21, s33
	s_mul_i32 s23, s16, s31
	s_ashr_i32 s39, s38, 31
	s_sub_i32 s23, s23, s28
	s_lshl_b64 s[0:1], s[38:39], 3
	s_add_u32 s38, s4, s0
	s_mul_i32 s0, s25, s42
	s_addc_u32 s39, s5, s1
	s_ashr_i32 s1, s0, 31
	s_lshl_b64 s[0:1], s[0:1], 3
	s_add_u32 s40, s40, s0
	s_addc_u32 s41, s41, s1
	s_abs_i32 s0, s19
	v_cvt_f32_u32_e32 v4, s0
	s_mul_i32 s1, s6, s3
	s_sub_i32 s21, s1, s30
	s_mul_i32 s1, s12, s2
	v_rcp_iflag_f32_e32 v4, v4
	s_sub_i32 s2, 0, s0
	s_sub_i32 s25, s1, s29
	s_ashr_i32 s1, s19, 31
	v_mul_f32_e32 v4, 0x4f7ffffe, v4
	v_cvt_u32_f32_e32 v4, v4
	v_mul_lo_u32 v3, v15, s17
	v_sub_u32_e32 v16, v1, v3
	v_mov_b32_e32 v3, 0
	v_mul_lo_u32 v5, s2, v4
	v_mul_hi_u32 v5, v4, v5
	v_add_u32_e32 v4, v4, v5
	v_mul_hi_u32 v4, v2, v4
	v_mul_lo_u32 v5, v4, s0
	v_sub_u32_e32 v5, v2, v5
	v_add_u32_e32 v6, 1, v4
	v_cmp_le_u32_e32 vcc, s0, v5
	s_mov_b64 s[28:29], 0
	s_mov_b64 s[30:31], 0x200
	v_cndmask_b32_e32 v4, v4, v6, vcc
	v_subrev_u32_e32 v6, s0, v5
	v_cndmask_b32_e32 v5, v5, v6, vcc
	v_add_u32_e32 v6, 1, v4
	v_cmp_le_u32_e32 vcc, s0, v5
	s_nop 1
	v_cndmask_b32_e32 v4, v4, v6, vcc
	v_xor_b32_e32 v4, s1, v4
	v_subrev_u32_e32 v17, s1, v4
	v_mul_lo_u32 v4, v17, s19
	v_cmp_gt_i32_e32 vcc, s18, v17
	v_sub_u32_e32 v18, v2, v4
	v_mov_b64_e32 v[4:5], 0
	v_lshlrev_b32_e32 v2, 3, v2
	s_branch .LBB33_6
.LBB33_3:                               ;   in Loop: Header=BB33_6 Depth=1
	s_or_b64 exec, exec, s[46:47]
.LBB33_4:                               ;   in Loop: Header=BB33_6 Depth=1
	s_or_b64 exec, exec, s[44:45]
.LBB33_5:                               ;   in Loop: Header=BB33_6 Depth=1
	s_or_b64 exec, exec, s[42:43]
	v_add_u32_e32 v1, s52, v1
	v_cmp_le_i32_e64 s[0:1], s51, v1
	s_or_b64 s[28:29], s[0:1], s[28:29]
	v_add_u32_e32 v16, s52, v16
	s_andn2_b64 exec, exec, s[28:29]
	s_cbranch_execz .LBB33_22
.LBB33_6:                               ; =>This Loop Header: Depth=1
                                        ;     Child Loop BB33_8 Depth 2
                                        ;     Child Loop BB33_14 Depth 2
                                        ;       Child Loop BB33_20 Depth 3
	v_cmp_le_i32_e64 s[0:1], s17, v16
	s_and_saveexec_b64 s[2:3], s[0:1]
	s_cbranch_execz .LBB33_10
; %bb.7:                                ;   in Loop: Header=BB33_6 Depth=1
	s_mov_b64 s[4:5], 0
.LBB33_8:                               ;   Parent Loop BB33_6 Depth=1
                                        ; =>  This Inner Loop Header: Depth=2
	v_subrev_u32_e32 v16, s17, v16
	v_cmp_gt_i32_e64 s[0:1], s17, v16
	s_or_b64 s[4:5], s[0:1], s[4:5]
	v_add_u32_e32 v15, 1, v15
	s_andn2_b64 exec, exec, s[4:5]
	s_cbranch_execnz .LBB33_8
; %bb.9:                                ;   in Loop: Header=BB33_6 Depth=1
	s_or_b64 exec, exec, s[4:5]
.LBB33_10:                              ;   in Loop: Header=BB33_6 Depth=1
	s_or_b64 exec, exec, s[2:3]
	v_mul_lo_u32 v6, v16, s11
	v_add_u32_e32 v6, s23, v6
	v_cmp_lt_i32_e64 s[0:1], -1, v6
	v_cmp_gt_i32_e64 s[2:3], s13, v6
	s_and_b64 s[0:1], s[0:1], s[2:3]
	s_and_saveexec_b64 s[42:43], s[0:1]
	s_cbranch_execz .LBB33_5
; %bb.11:                               ;   in Loop: Header=BB33_6 Depth=1
	s_and_saveexec_b64 s[44:45], vcc
	s_cbranch_execz .LBB33_4
; %bb.12:                               ;   in Loop: Header=BB33_6 Depth=1
	v_mul_lo_u32 v8, s24, v15
	v_ashrrev_i32_e32 v9, 31, v8
	v_mul_lo_u32 v6, s26, v6
	v_lshl_add_u64 v[8:9], v[8:9], 3, s[40:41]
	v_ashrrev_i32_e32 v7, 31, v6
	v_lshl_add_u64 v[6:7], v[6:7], 3, v[8:9]
	v_mul_lo_u32 v8, s20, v15
	v_ashrrev_i32_e32 v9, 31, v8
	v_mul_lo_u32 v10, s22, v16
	v_lshl_add_u64 v[8:9], v[8:9], 3, s[38:39]
	v_ashrrev_i32_e32 v11, 31, v10
	v_lshl_add_u64 v[8:9], v[10:11], 3, v[8:9]
	v_lshl_add_u64 v[8:9], v[8:9], 0, v[2:3]
	s_mov_b64 s[46:47], 0
	v_mov_b32_e32 v19, v18
	v_mov_b32_e32 v20, v17
	s_branch .LBB33_14
.LBB33_13:                              ;   in Loop: Header=BB33_14 Depth=2
	s_or_b64 exec, exec, s[2:3]
	v_cmp_le_i32_e64 s[0:1], s18, v20
	v_lshl_add_u64 v[8:9], v[8:9], 0, s[30:31]
	s_or_b64 s[46:47], s[0:1], s[46:47]
	s_waitcnt vmcnt(0)
	v_fmac_f64_e32 v[4:5], v[10:11], v[12:13]
	s_andn2_b64 exec, exec, s[46:47]
	s_cbranch_execz .LBB33_3
.LBB33_14:                              ;   Parent Loop BB33_6 Depth=1
                                        ; =>  This Loop Header: Depth=2
                                        ;       Child Loop BB33_20 Depth 3
	global_load_dwordx2 v[10:11], v[8:9], off
	v_lshl_add_u32 v14, v19, 1, s21
	v_cmp_lt_i32_e64 s[0:1], -1, v14
	v_mov_b64_e32 v[12:13], 0
	s_and_saveexec_b64 s[48:49], s[0:1]
	s_cbranch_execz .LBB33_18
; %bb.15:                               ;   in Loop: Header=BB33_14 Depth=2
	v_lshl_add_u32 v21, v20, 1, s25
	v_cmp_gt_i32_e64 s[0:1], s15, v14
	v_cmp_gt_i32_e64 s[4:5], s14, v21
	v_cmp_lt_i32_e64 s[2:3], -1, v21
	s_and_b64 s[0:1], s[0:1], s[4:5]
	s_and_b64 s[2:3], s[0:1], s[2:3]
	v_mov_b64_e32 v[12:13], 0
	s_and_saveexec_b64 s[0:1], s[2:3]
	s_cbranch_execz .LBB33_17
; %bb.16:                               ;   in Loop: Header=BB33_14 Depth=2
	v_mad_u64_u32 v[12:13], s[2:3], v21, s15, v[14:15]
	v_mov_b32_e32 v13, v3
	v_lshl_add_u64 v[12:13], v[12:13], 3, v[6:7]
	global_load_dwordx2 v[12:13], v[12:13], off
.LBB33_17:                              ;   in Loop: Header=BB33_14 Depth=2
	s_or_b64 exec, exec, s[0:1]
.LBB33_18:                              ;   in Loop: Header=BB33_14 Depth=2
	s_or_b64 exec, exec, s[48:49]
	v_add_u32_e32 v19, 64, v19
	v_cmp_le_i32_e64 s[0:1], s19, v19
	s_and_saveexec_b64 s[2:3], s[0:1]
	s_cbranch_execz .LBB33_13
; %bb.19:                               ;   in Loop: Header=BB33_14 Depth=2
	s_mov_b64 s[4:5], 0
.LBB33_20:                              ;   Parent Loop BB33_6 Depth=1
                                        ;     Parent Loop BB33_14 Depth=2
                                        ; =>    This Inner Loop Header: Depth=3
	v_subrev_u32_e32 v19, s19, v19
	v_cmp_gt_i32_e64 s[0:1], s19, v19
	s_or_b64 s[4:5], s[0:1], s[4:5]
	v_add_u32_e32 v20, 1, v20
	s_andn2_b64 exec, exec, s[4:5]
	s_cbranch_execnz .LBB33_20
; %bb.21:                               ;   in Loop: Header=BB33_14 Depth=2
	s_or_b64 exec, exec, s[4:5]
	s_branch .LBB33_13
.LBB33_22:
	s_or_b64 exec, exec, s[28:29]
.LBB33_23:
	s_or_b64 exec, exec, s[36:37]
	s_bcnt1_i32_b32 s0, s50
	v_lshl_add_u32 v1, v0, 3, 0
	s_cmp_lg_u32 s0, 1
	s_mov_b64 s[0:1], -1
	ds_write_b64 v1, v[4:5]
	s_waitcnt lgkmcnt(0)
	s_barrier
	s_cbranch_scc1 .LBB33_32
; %bb.24:
	s_andn2_b64 vcc, exec, s[0:1]
	s_cbranch_vccnz .LBB33_28
.LBB33_25:
	s_cmp_lt_u32 s50, 2
	s_cbranch_scc0 .LBB33_30
.LBB33_26:
	v_cmp_eq_u32_e32 vcc, 0, v0
	s_and_saveexec_b64 s[0:1], vcc
	s_cbranch_execz .LBB33_28
; %bb.27:
	s_mul_i32 s0, s7, s33
	s_ashr_i32 s1, s0, 31
	s_lshl_b64 s[0:1], s[0:1], 3
	s_add_u32 s2, s34, s0
	s_mul_i32 s0, s8, s16
	s_addc_u32 s3, s35, s1
	s_ashr_i32 s1, s0, 31
	s_lshl_b64 s[0:1], s[0:1], 3
	s_add_u32 s2, s2, s0
	s_mul_i32 s0, s9, s12
	s_addc_u32 s3, s3, s1
	s_ashr_i32 s1, s0, 31
	s_lshl_b64 s[0:1], s[0:1], 3
	v_mov_b32_e32 v2, 0
	s_add_u32 s2, s2, s0
	s_mul_i32 s0, s10, s6
	ds_read_b64 v[0:1], v2
	s_addc_u32 s3, s3, s1
	s_ashr_i32 s1, s0, 31
	s_lshl_b64 s[0:1], s[0:1], 3
	s_add_u32 s0, s2, s0
	s_addc_u32 s1, s3, s1
	s_waitcnt lgkmcnt(0)
	global_store_dwordx2 v2, v[0:1], s[0:1]
.LBB33_28:
	s_endpgm
.LBB33_29:                              ;   in Loop: Header=BB33_30 Depth=1
	s_or_b64 exec, exec, s[0:1]
	s_cmp_lt_u32 s50, 4
	s_mov_b32 s50, s2
	s_waitcnt lgkmcnt(0)
	s_barrier
	s_cbranch_scc1 .LBB33_26
.LBB33_30:                              ; =>This Inner Loop Header: Depth=1
	s_lshr_b32 s2, s50, 1
	v_cmp_gt_u32_e32 vcc, s2, v0
	s_and_saveexec_b64 s[0:1], vcc
	s_cbranch_execz .LBB33_29
; %bb.31:                               ;   in Loop: Header=BB33_30 Depth=1
	v_lshl_add_u32 v2, s2, 3, v1
	ds_read_b64 v[2:3], v2
	ds_read_b64 v[4:5], v1
	s_waitcnt lgkmcnt(0)
	v_add_f64 v[2:3], v[2:3], v[4:5]
	ds_write_b64 v1, v[2:3]
	s_branch .LBB33_29
.LBB33_32:
	s_trap 2
	; divergent unreachable
	s_cbranch_execz .LBB33_25
	s_branch .LBB33_28
	.section	.rodata,"a",@progbits
	.p2align	6, 0x0
	.amdhsa_kernel _ZN2at6native12_GLOBAL__N_144conv_depthwise3d_cuda_backward_weight_kernelIddLi2ELi2EEEvN5torch10headeronly6detail27GenericPackedTensorAccessorINS5_14TensorAccessorIN3c108ArrayRefIlEEKT_Lm4ENS4_16DefaultPtrTraitsEiEENS_6detail16IndexBoundsCheckILm5EiEESC_Lm5ESD_iEESI_NS6_INS7_ISA_SB_Lm4ESD_iEESH_SB_Lm5ESD_iEEiiiiiiiii
		.amdhsa_group_segment_fixed_size 0
		.amdhsa_private_segment_fixed_size 0
		.amdhsa_kernarg_size 440
		.amdhsa_user_sgpr_count 2
		.amdhsa_user_sgpr_dispatch_ptr 0
		.amdhsa_user_sgpr_queue_ptr 0
		.amdhsa_user_sgpr_kernarg_segment_ptr 1
		.amdhsa_user_sgpr_dispatch_id 0
		.amdhsa_user_sgpr_kernarg_preload_length 0
		.amdhsa_user_sgpr_kernarg_preload_offset 0
		.amdhsa_user_sgpr_private_segment_size 0
		.amdhsa_uses_dynamic_stack 0
		.amdhsa_enable_private_segment 0
		.amdhsa_system_sgpr_workgroup_id_x 1
		.amdhsa_system_sgpr_workgroup_id_y 0
		.amdhsa_system_sgpr_workgroup_id_z 0
		.amdhsa_system_sgpr_workgroup_info 0
		.amdhsa_system_vgpr_workitem_id 0
		.amdhsa_next_free_vgpr 22
		.amdhsa_next_free_sgpr 53
		.amdhsa_accum_offset 24
		.amdhsa_reserve_vcc 1
		.amdhsa_float_round_mode_32 0
		.amdhsa_float_round_mode_16_64 0
		.amdhsa_float_denorm_mode_32 3
		.amdhsa_float_denorm_mode_16_64 3
		.amdhsa_dx10_clamp 1
		.amdhsa_ieee_mode 1
		.amdhsa_fp16_overflow 0
		.amdhsa_tg_split 0
		.amdhsa_exception_fp_ieee_invalid_op 0
		.amdhsa_exception_fp_denorm_src 0
		.amdhsa_exception_fp_ieee_div_zero 0
		.amdhsa_exception_fp_ieee_overflow 0
		.amdhsa_exception_fp_ieee_underflow 0
		.amdhsa_exception_fp_ieee_inexact 0
		.amdhsa_exception_int_div_zero 0
	.end_amdhsa_kernel
	.section	.text._ZN2at6native12_GLOBAL__N_144conv_depthwise3d_cuda_backward_weight_kernelIddLi2ELi2EEEvN5torch10headeronly6detail27GenericPackedTensorAccessorINS5_14TensorAccessorIN3c108ArrayRefIlEEKT_Lm4ENS4_16DefaultPtrTraitsEiEENS_6detail16IndexBoundsCheckILm5EiEESC_Lm5ESD_iEESI_NS6_INS7_ISA_SB_Lm4ESD_iEESH_SB_Lm5ESD_iEEiiiiiiiii,"axG",@progbits,_ZN2at6native12_GLOBAL__N_144conv_depthwise3d_cuda_backward_weight_kernelIddLi2ELi2EEEvN5torch10headeronly6detail27GenericPackedTensorAccessorINS5_14TensorAccessorIN3c108ArrayRefIlEEKT_Lm4ENS4_16DefaultPtrTraitsEiEENS_6detail16IndexBoundsCheckILm5EiEESC_Lm5ESD_iEESI_NS6_INS7_ISA_SB_Lm4ESD_iEESH_SB_Lm5ESD_iEEiiiiiiiii,comdat
.Lfunc_end33:
	.size	_ZN2at6native12_GLOBAL__N_144conv_depthwise3d_cuda_backward_weight_kernelIddLi2ELi2EEEvN5torch10headeronly6detail27GenericPackedTensorAccessorINS5_14TensorAccessorIN3c108ArrayRefIlEEKT_Lm4ENS4_16DefaultPtrTraitsEiEENS_6detail16IndexBoundsCheckILm5EiEESC_Lm5ESD_iEESI_NS6_INS7_ISA_SB_Lm4ESD_iEESH_SB_Lm5ESD_iEEiiiiiiiii, .Lfunc_end33-_ZN2at6native12_GLOBAL__N_144conv_depthwise3d_cuda_backward_weight_kernelIddLi2ELi2EEEvN5torch10headeronly6detail27GenericPackedTensorAccessorINS5_14TensorAccessorIN3c108ArrayRefIlEEKT_Lm4ENS4_16DefaultPtrTraitsEiEENS_6detail16IndexBoundsCheckILm5EiEESC_Lm5ESD_iEESI_NS6_INS7_ISA_SB_Lm4ESD_iEESH_SB_Lm5ESD_iEEiiiiiiiii
                                        ; -- End function
	.set _ZN2at6native12_GLOBAL__N_144conv_depthwise3d_cuda_backward_weight_kernelIddLi2ELi2EEEvN5torch10headeronly6detail27GenericPackedTensorAccessorINS5_14TensorAccessorIN3c108ArrayRefIlEEKT_Lm4ENS4_16DefaultPtrTraitsEiEENS_6detail16IndexBoundsCheckILm5EiEESC_Lm5ESD_iEESI_NS6_INS7_ISA_SB_Lm4ESD_iEESH_SB_Lm5ESD_iEEiiiiiiiii.num_vgpr, 22
	.set _ZN2at6native12_GLOBAL__N_144conv_depthwise3d_cuda_backward_weight_kernelIddLi2ELi2EEEvN5torch10headeronly6detail27GenericPackedTensorAccessorINS5_14TensorAccessorIN3c108ArrayRefIlEEKT_Lm4ENS4_16DefaultPtrTraitsEiEENS_6detail16IndexBoundsCheckILm5EiEESC_Lm5ESD_iEESI_NS6_INS7_ISA_SB_Lm4ESD_iEESH_SB_Lm5ESD_iEEiiiiiiiii.num_agpr, 0
	.set _ZN2at6native12_GLOBAL__N_144conv_depthwise3d_cuda_backward_weight_kernelIddLi2ELi2EEEvN5torch10headeronly6detail27GenericPackedTensorAccessorINS5_14TensorAccessorIN3c108ArrayRefIlEEKT_Lm4ENS4_16DefaultPtrTraitsEiEENS_6detail16IndexBoundsCheckILm5EiEESC_Lm5ESD_iEESI_NS6_INS7_ISA_SB_Lm4ESD_iEESH_SB_Lm5ESD_iEEiiiiiiiii.numbered_sgpr, 53
	.set _ZN2at6native12_GLOBAL__N_144conv_depthwise3d_cuda_backward_weight_kernelIddLi2ELi2EEEvN5torch10headeronly6detail27GenericPackedTensorAccessorINS5_14TensorAccessorIN3c108ArrayRefIlEEKT_Lm4ENS4_16DefaultPtrTraitsEiEENS_6detail16IndexBoundsCheckILm5EiEESC_Lm5ESD_iEESI_NS6_INS7_ISA_SB_Lm4ESD_iEESH_SB_Lm5ESD_iEEiiiiiiiii.num_named_barrier, 0
	.set _ZN2at6native12_GLOBAL__N_144conv_depthwise3d_cuda_backward_weight_kernelIddLi2ELi2EEEvN5torch10headeronly6detail27GenericPackedTensorAccessorINS5_14TensorAccessorIN3c108ArrayRefIlEEKT_Lm4ENS4_16DefaultPtrTraitsEiEENS_6detail16IndexBoundsCheckILm5EiEESC_Lm5ESD_iEESI_NS6_INS7_ISA_SB_Lm4ESD_iEESH_SB_Lm5ESD_iEEiiiiiiiii.private_seg_size, 0
	.set _ZN2at6native12_GLOBAL__N_144conv_depthwise3d_cuda_backward_weight_kernelIddLi2ELi2EEEvN5torch10headeronly6detail27GenericPackedTensorAccessorINS5_14TensorAccessorIN3c108ArrayRefIlEEKT_Lm4ENS4_16DefaultPtrTraitsEiEENS_6detail16IndexBoundsCheckILm5EiEESC_Lm5ESD_iEESI_NS6_INS7_ISA_SB_Lm4ESD_iEESH_SB_Lm5ESD_iEEiiiiiiiii.uses_vcc, 1
	.set _ZN2at6native12_GLOBAL__N_144conv_depthwise3d_cuda_backward_weight_kernelIddLi2ELi2EEEvN5torch10headeronly6detail27GenericPackedTensorAccessorINS5_14TensorAccessorIN3c108ArrayRefIlEEKT_Lm4ENS4_16DefaultPtrTraitsEiEENS_6detail16IndexBoundsCheckILm5EiEESC_Lm5ESD_iEESI_NS6_INS7_ISA_SB_Lm4ESD_iEESH_SB_Lm5ESD_iEEiiiiiiiii.uses_flat_scratch, 0
	.set _ZN2at6native12_GLOBAL__N_144conv_depthwise3d_cuda_backward_weight_kernelIddLi2ELi2EEEvN5torch10headeronly6detail27GenericPackedTensorAccessorINS5_14TensorAccessorIN3c108ArrayRefIlEEKT_Lm4ENS4_16DefaultPtrTraitsEiEENS_6detail16IndexBoundsCheckILm5EiEESC_Lm5ESD_iEESI_NS6_INS7_ISA_SB_Lm4ESD_iEESH_SB_Lm5ESD_iEEiiiiiiiii.has_dyn_sized_stack, 0
	.set _ZN2at6native12_GLOBAL__N_144conv_depthwise3d_cuda_backward_weight_kernelIddLi2ELi2EEEvN5torch10headeronly6detail27GenericPackedTensorAccessorINS5_14TensorAccessorIN3c108ArrayRefIlEEKT_Lm4ENS4_16DefaultPtrTraitsEiEENS_6detail16IndexBoundsCheckILm5EiEESC_Lm5ESD_iEESI_NS6_INS7_ISA_SB_Lm4ESD_iEESH_SB_Lm5ESD_iEEiiiiiiiii.has_recursion, 0
	.set _ZN2at6native12_GLOBAL__N_144conv_depthwise3d_cuda_backward_weight_kernelIddLi2ELi2EEEvN5torch10headeronly6detail27GenericPackedTensorAccessorINS5_14TensorAccessorIN3c108ArrayRefIlEEKT_Lm4ENS4_16DefaultPtrTraitsEiEENS_6detail16IndexBoundsCheckILm5EiEESC_Lm5ESD_iEESI_NS6_INS7_ISA_SB_Lm4ESD_iEESH_SB_Lm5ESD_iEEiiiiiiiii.has_indirect_call, 0
	.section	.AMDGPU.csdata,"",@progbits
; Kernel info:
; codeLenInByte = 1800
; TotalNumSgprs: 59
; NumVgprs: 22
; NumAgprs: 0
; TotalNumVgprs: 22
; ScratchSize: 0
; MemoryBound: 0
; FloatMode: 240
; IeeeMode: 1
; LDSByteSize: 0 bytes/workgroup (compile time only)
; SGPRBlocks: 7
; VGPRBlocks: 2
; NumSGPRsForWavesPerEU: 59
; NumVGPRsForWavesPerEU: 22
; AccumOffset: 24
; Occupancy: 8
; WaveLimiterHint : 1
; COMPUTE_PGM_RSRC2:SCRATCH_EN: 0
; COMPUTE_PGM_RSRC2:USER_SGPR: 2
; COMPUTE_PGM_RSRC2:TRAP_HANDLER: 0
; COMPUTE_PGM_RSRC2:TGID_X_EN: 1
; COMPUTE_PGM_RSRC2:TGID_Y_EN: 0
; COMPUTE_PGM_RSRC2:TGID_Z_EN: 0
; COMPUTE_PGM_RSRC2:TIDIG_COMP_CNT: 0
; COMPUTE_PGM_RSRC3_GFX90A:ACCUM_OFFSET: 5
; COMPUTE_PGM_RSRC3_GFX90A:TG_SPLIT: 0
	.section	.text._ZN2at6native12_GLOBAL__N_144conv_depthwise3d_cuda_backward_weight_kernelIddLin1ELin1EEEvN5torch10headeronly6detail27GenericPackedTensorAccessorINS5_14TensorAccessorIN3c108ArrayRefIlEEKT_Lm4ENS4_16DefaultPtrTraitsEiEENS_6detail16IndexBoundsCheckILm5EiEESC_Lm5ESD_iEESI_NS6_INS7_ISA_SB_Lm4ESD_iEESH_SB_Lm5ESD_iEEiiiiiiiii,"axG",@progbits,_ZN2at6native12_GLOBAL__N_144conv_depthwise3d_cuda_backward_weight_kernelIddLin1ELin1EEEvN5torch10headeronly6detail27GenericPackedTensorAccessorINS5_14TensorAccessorIN3c108ArrayRefIlEEKT_Lm4ENS4_16DefaultPtrTraitsEiEENS_6detail16IndexBoundsCheckILm5EiEESC_Lm5ESD_iEESI_NS6_INS7_ISA_SB_Lm4ESD_iEESH_SB_Lm5ESD_iEEiiiiiiiii,comdat
	.globl	_ZN2at6native12_GLOBAL__N_144conv_depthwise3d_cuda_backward_weight_kernelIddLin1ELin1EEEvN5torch10headeronly6detail27GenericPackedTensorAccessorINS5_14TensorAccessorIN3c108ArrayRefIlEEKT_Lm4ENS4_16DefaultPtrTraitsEiEENS_6detail16IndexBoundsCheckILm5EiEESC_Lm5ESD_iEESI_NS6_INS7_ISA_SB_Lm4ESD_iEESH_SB_Lm5ESD_iEEiiiiiiiii ; -- Begin function _ZN2at6native12_GLOBAL__N_144conv_depthwise3d_cuda_backward_weight_kernelIddLin1ELin1EEEvN5torch10headeronly6detail27GenericPackedTensorAccessorINS5_14TensorAccessorIN3c108ArrayRefIlEEKT_Lm4ENS4_16DefaultPtrTraitsEiEENS_6detail16IndexBoundsCheckILm5EiEESC_Lm5ESD_iEESI_NS6_INS7_ISA_SB_Lm4ESD_iEESH_SB_Lm5ESD_iEEiiiiiiiii
	.p2align	8
	.type	_ZN2at6native12_GLOBAL__N_144conv_depthwise3d_cuda_backward_weight_kernelIddLin1ELin1EEEvN5torch10headeronly6detail27GenericPackedTensorAccessorINS5_14TensorAccessorIN3c108ArrayRefIlEEKT_Lm4ENS4_16DefaultPtrTraitsEiEENS_6detail16IndexBoundsCheckILm5EiEESC_Lm5ESD_iEESI_NS6_INS7_ISA_SB_Lm4ESD_iEESH_SB_Lm5ESD_iEEiiiiiiiii,@function
_ZN2at6native12_GLOBAL__N_144conv_depthwise3d_cuda_backward_weight_kernelIddLin1ELin1EEEvN5torch10headeronly6detail27GenericPackedTensorAccessorINS5_14TensorAccessorIN3c108ArrayRefIlEEKT_Lm4ENS4_16DefaultPtrTraitsEiEENS_6detail16IndexBoundsCheckILm5EiEESC_Lm5ESD_iEESI_NS6_INS7_ISA_SB_Lm4ESD_iEESH_SB_Lm5ESD_iEEiiiiiiiii: ; @_ZN2at6native12_GLOBAL__N_144conv_depthwise3d_cuda_backward_weight_kernelIddLin1ELin1EEEvN5torch10headeronly6detail27GenericPackedTensorAccessorINS5_14TensorAccessorIN3c108ArrayRefIlEEKT_Lm4ENS4_16DefaultPtrTraitsEiEENS_6detail16IndexBoundsCheckILm5EiEESC_Lm5ESD_iEESI_NS6_INS7_ISA_SB_Lm4ESD_iEESH_SB_Lm5ESD_iEEiiiiiiiii
; %bb.0:
	s_load_dwordx4 s[4:7], s[0:1], 0x70
	s_add_u32 s24, s0, 0x60
	s_addc_u32 s25, s1, 0
	s_load_dwordx4 s[16:19], s[0:1], 0x3c
	s_load_dwordx4 s[20:23], s[0:1], 0xc
	s_waitcnt lgkmcnt(0)
	v_cvt_f32_u32_e32 v1, s6
	v_cvt_f32_u32_e32 v2, s5
	s_sub_i32 s3, 0, s6
	v_rcp_iflag_f32_e32 v1, v1
	v_rcp_iflag_f32_e32 v2, v2
	v_mul_f32_e32 v1, 0x4f7ffffe, v1
	v_cvt_u32_f32_e32 v1, v1
	v_mul_f32_e32 v2, 0x4f7ffffe, v2
	v_cvt_u32_f32_e32 v2, v2
	v_readfirstlane_b32 s8, v1
	s_mul_i32 s3, s3, s8
	s_mul_hi_u32 s3, s8, s3
	s_add_i32 s8, s8, s3
	s_mul_hi_u32 s3, s2, s8
	s_mul_i32 s8, s3, s6
	s_sub_i32 s8, s2, s8
	s_add_i32 s10, s3, 1
	s_sub_i32 s11, s8, s6
	s_cmp_ge_u32 s8, s6
	s_cselect_b32 s3, s10, s3
	s_cselect_b32 s8, s11, s8
	s_add_i32 s10, s3, 1
	s_cmp_ge_u32 s8, s6
	v_cvt_f32_u32_e32 v1, s4
	v_readfirstlane_b32 s9, v2
	s_cselect_b32 s3, s10, s3
	s_sub_i32 s8, 0, s5
	s_mul_i32 s8, s8, s9
	s_mul_hi_u32 s8, s9, s8
	s_add_i32 s9, s9, s8
	v_rcp_iflag_f32_e32 v1, v1
	s_mul_hi_u32 s8, s3, s9
	s_mul_i32 s9, s8, s5
	s_sub_i32 s9, s3, s9
	s_add_i32 s10, s8, 1
	s_sub_i32 s11, s9, s5
	v_mul_f32_e32 v1, 0x4f7ffffe, v1
	s_cmp_ge_u32 s9, s5
	v_cvt_u32_f32_e32 v1, v1
	s_cselect_b32 s8, s10, s8
	s_cselect_b32 s9, s11, s9
	s_add_i32 s10, s8, 1
	s_cmp_ge_u32 s9, s5
	s_cselect_b32 s26, s10, s8
	s_sub_i32 s8, 0, s4
	v_readfirstlane_b32 s9, v1
	s_mul_i32 s8, s8, s9
	s_mul_hi_u32 s8, s9, s8
	s_add_i32 s9, s9, s8
	s_mul_hi_u32 s8, s26, s9
	s_mul_i32 s9, s8, s4
	s_sub_i32 s9, s26, s9
	s_add_i32 s10, s8, 1
	s_sub_i32 s11, s9, s4
	s_cmp_ge_u32 s9, s4
	s_cselect_b32 s8, s10, s8
	s_cselect_b32 s9, s11, s9
	s_add_i32 s10, s8, 1
	s_cmp_ge_u32 s9, s4
	s_cselect_b32 s33, s10, s8
	s_abs_i32 s8, s16
	v_cvt_f32_u32_e32 v1, s8
	s_sub_i32 s11, 0, s8
	s_abs_i32 s10, s20
	s_xor_b32 s9, s20, s16
	v_rcp_iflag_f32_e32 v1, v1
	s_ashr_i32 s9, s9, 31
	v_mul_f32_e32 v1, 0x4f7ffffe, v1
	v_cvt_u32_f32_e32 v1, v1
	s_nop 0
	v_readfirstlane_b32 s12, v1
	s_mul_i32 s11, s11, s12
	s_mul_hi_u32 s11, s12, s11
	s_add_i32 s12, s12, s11
	s_mul_hi_u32 s11, s10, s12
	s_mul_i32 s12, s11, s8
	s_sub_i32 s10, s10, s12
	s_add_i32 s12, s11, 1
	s_sub_i32 s13, s10, s8
	s_cmp_ge_u32 s10, s8
	s_cselect_b32 s11, s12, s11
	s_cselect_b32 s10, s13, s10
	s_add_i32 s12, s11, 1
	s_cmp_ge_u32 s10, s8
	s_cselect_b32 s8, s12, s11
	s_xor_b32 s8, s8, s9
	s_sub_i32 s28, s8, s9
	s_abs_i32 s27, s28
	v_cvt_f32_u32_e32 v1, s27
	s_load_dword s8, s[0:1], 0x68
	v_rcp_iflag_f32_e32 v1, v1
	s_waitcnt lgkmcnt(0)
	s_cmp_ge_i32 s33, s8
	v_mul_f32_e32 v1, 0x4f7ffffe, v1
	v_cvt_u32_f32_e32 v1, v1
	s_nop 0
	v_readfirstlane_b32 s29, v1
	s_cbranch_scc1 .LBB34_28
; %bb.1:
	s_mul_i32 s6, s3, s6
	s_sub_i32 s6, s2, s6
	s_mul_i32 s2, s26, s5
	s_load_dwordx2 s[34:35], s[24:25], 0x0
	s_load_dwordx8 s[8:15], s[24:25], 0x24
	s_sub_i32 s16, s3, s2
	s_load_dwordx4 s[36:39], s[24:25], 0x44
	s_load_dword s2, s[0:1], 0xc4
	s_load_dword s53, s[0:1], 0x38
	s_mul_i32 s3, s33, s4
	v_lshrrev_b32_e32 v1, 6, v0
	s_sub_i32 s20, s26, s3
	s_waitcnt lgkmcnt(0)
	s_and_b32 s52, s2, 0xffff
	s_mul_i32 s53, s53, s21
	v_cmp_gt_i32_e32 vcc, s53, v1
	v_mov_b64_e32 v[4:5], 0
	s_and_saveexec_b64 s[40:41], vcc
	s_cbranch_execz .LBB34_23
; %bb.2:
	s_sub_i32 s5, 0, s27
	s_mul_i32 s5, s5, s29
	s_mul_hi_u32 s5, s29, s5
	s_abs_i32 s4, s33
	s_add_i32 s29, s29, s5
	s_ashr_i32 s2, s33, 31
	s_ashr_i32 s3, s28, 31
	s_mul_hi_u32 s5, s4, s29
	s_xor_b32 s2, s2, s3
	s_mul_i32 s3, s5, s27
	s_sub_i32 s3, s4, s3
	s_lshr_b32 s54, s52, 6
	s_add_i32 s4, s5, 1
	s_sub_i32 s24, s3, s27
	s_cmp_ge_u32 s3, s27
	s_cselect_b32 s4, s4, s5
	s_cselect_b32 s3, s24, s3
	s_add_i32 s5, s4, 1
	s_cmp_ge_u32 s3, s27
	s_cselect_b32 s3, s5, s4
	s_abs_i32 s4, s21
	v_cvt_f32_u32_e32 v2, s4
	s_xor_b32 s3, s3, s2
	s_sub_i32 s46, s3, s2
	s_sub_i32 s2, 0, s4
	v_rcp_iflag_f32_e32 v3, v2
	s_ashr_i32 s5, s21, 31
	v_and_b32_e32 v2, 63, v0
	v_mul_f32_e32 v3, 0x4f7ffffe, v3
	v_cvt_u32_f32_e32 v3, v3
	v_mul_lo_u32 v4, s2, v3
	v_mul_hi_u32 v4, v3, v4
	v_add_u32_e32 v3, v3, v4
	v_mul_hi_u32 v3, v1, v3
	v_mul_lo_u32 v4, v3, s4
	v_sub_u32_e32 v4, v1, v4
	v_add_u32_e32 v5, 1, v3
	v_cmp_le_u32_e32 vcc, s4, v4
	s_load_dwordx2 s[2:3], s[0:1], 0x0
	s_load_dwordx4 s[24:27], s[0:1], 0x1c
	v_cndmask_b32_e32 v3, v3, v5, vcc
	v_subrev_u32_e32 v5, s4, v4
	v_cndmask_b32_e32 v4, v4, v5, vcc
	v_add_u32_e32 v5, 1, v3
	v_cmp_le_u32_e32 vcc, s4, v4
	s_load_dwordx2 s[44:45], s[0:1], 0x30
	s_load_dwordx4 s[28:31], s[0:1], 0x4c
	v_cndmask_b32_e32 v3, v3, v5, vcc
	s_mul_i32 s4, s20, s37
	v_xor_b32_e32 v3, s5, v3
	s_waitcnt lgkmcnt(0)
	s_sub_i32 s27, s4, s14
	s_mul_i32 s4, s25, s33
	v_subrev_u32_e32 v15, s5, v3
	s_ashr_i32 s5, s4, 31
	s_lshl_b64 s[0:1], s[4:5], 3
	s_add_u32 s42, s2, s0
	s_mul_i32 s0, s29, s46
	s_addc_u32 s43, s3, s1
	s_ashr_i32 s1, s0, 31
	s_lshl_b64 s[0:1], s[0:1], 3
	s_add_u32 s44, s44, s0
	s_addc_u32 s45, s45, s1
	s_abs_i32 s0, s23
	v_cvt_f32_u32_e32 v4, s0
	s_sub_i32 s2, 0, s0
	s_mul_i32 s1, s6, s39
	s_sub_i32 s25, s1, s36
	v_rcp_iflag_f32_e32 v4, v4
	s_mul_i32 s1, s16, s38
	s_sub_i32 s29, s1, s15
	s_ashr_i32 s1, s23, 31
	v_mul_f32_e32 v4, 0x4f7ffffe, v4
	v_cvt_u32_f32_e32 v4, v4
	v_mul_lo_u32 v3, v15, s21
	v_sub_u32_e32 v16, v1, v3
	v_mov_b32_e32 v3, 0
	v_mul_lo_u32 v5, s2, v4
	v_mul_hi_u32 v5, v4, v5
	v_add_u32_e32 v4, v4, v5
	v_mul_hi_u32 v4, v2, v4
	v_mul_lo_u32 v5, v4, s0
	v_sub_u32_e32 v5, v2, v5
	v_add_u32_e32 v6, 1, v4
	v_cmp_le_u32_e32 vcc, s0, v5
	s_mov_b64 s[14:15], 0
	s_mov_b64 s[36:37], 0x200
	v_cndmask_b32_e32 v4, v4, v6, vcc
	v_subrev_u32_e32 v6, s0, v5
	v_cndmask_b32_e32 v5, v5, v6, vcc
	v_add_u32_e32 v6, 1, v4
	v_cmp_le_u32_e32 vcc, s0, v5
	s_nop 1
	v_cndmask_b32_e32 v4, v4, v6, vcc
	v_xor_b32_e32 v4, s1, v4
	v_subrev_u32_e32 v17, s1, v4
	v_mul_lo_u32 v4, v17, s23
	v_cmp_gt_i32_e32 vcc, s22, v17
	v_sub_u32_e32 v18, v2, v4
	v_mov_b64_e32 v[4:5], 0
	v_lshlrev_b32_e32 v2, 3, v2
	s_branch .LBB34_6
.LBB34_3:                               ;   in Loop: Header=BB34_6 Depth=1
	s_or_b64 exec, exec, s[48:49]
.LBB34_4:                               ;   in Loop: Header=BB34_6 Depth=1
	s_or_b64 exec, exec, s[46:47]
.LBB34_5:                               ;   in Loop: Header=BB34_6 Depth=1
	s_or_b64 exec, exec, s[38:39]
	v_add_u32_e32 v1, s54, v1
	v_cmp_le_i32_e64 s[0:1], s53, v1
	s_or_b64 s[14:15], s[0:1], s[14:15]
	v_add_u32_e32 v16, s54, v16
	s_andn2_b64 exec, exec, s[14:15]
	s_cbranch_execz .LBB34_22
.LBB34_6:                               ; =>This Loop Header: Depth=1
                                        ;     Child Loop BB34_8 Depth 2
                                        ;     Child Loop BB34_14 Depth 2
                                        ;       Child Loop BB34_20 Depth 3
	v_cmp_le_i32_e64 s[0:1], s21, v16
	s_and_saveexec_b64 s[2:3], s[0:1]
	s_cbranch_execz .LBB34_10
; %bb.7:                                ;   in Loop: Header=BB34_6 Depth=1
	s_mov_b64 s[4:5], 0
.LBB34_8:                               ;   Parent Loop BB34_6 Depth=1
                                        ; =>  This Inner Loop Header: Depth=2
	v_subrev_u32_e32 v16, s21, v16
	v_cmp_gt_i32_e64 s[0:1], s21, v16
	s_or_b64 s[4:5], s[0:1], s[4:5]
	v_add_u32_e32 v15, 1, v15
	s_andn2_b64 exec, exec, s[4:5]
	s_cbranch_execnz .LBB34_8
; %bb.9:                                ;   in Loop: Header=BB34_6 Depth=1
	s_or_b64 exec, exec, s[4:5]
.LBB34_10:                              ;   in Loop: Header=BB34_6 Depth=1
	s_or_b64 exec, exec, s[2:3]
	v_mul_lo_u32 v6, v16, s11
	v_add_u32_e32 v6, s27, v6
	v_cmp_lt_i32_e64 s[0:1], -1, v6
	v_cmp_gt_i32_e64 s[2:3], s17, v6
	s_and_b64 s[0:1], s[0:1], s[2:3]
	s_and_saveexec_b64 s[38:39], s[0:1]
	s_cbranch_execz .LBB34_5
; %bb.11:                               ;   in Loop: Header=BB34_6 Depth=1
	s_and_saveexec_b64 s[46:47], vcc
	s_cbranch_execz .LBB34_4
; %bb.12:                               ;   in Loop: Header=BB34_6 Depth=1
	v_mul_lo_u32 v8, s28, v15
	v_ashrrev_i32_e32 v9, 31, v8
	v_mul_lo_u32 v6, s30, v6
	v_lshl_add_u64 v[8:9], v[8:9], 3, s[44:45]
	v_ashrrev_i32_e32 v7, 31, v6
	v_lshl_add_u64 v[6:7], v[6:7], 3, v[8:9]
	v_mul_lo_u32 v8, s24, v15
	v_ashrrev_i32_e32 v9, 31, v8
	v_mul_lo_u32 v10, s26, v16
	v_lshl_add_u64 v[8:9], v[8:9], 3, s[42:43]
	v_ashrrev_i32_e32 v11, 31, v10
	v_lshl_add_u64 v[8:9], v[10:11], 3, v[8:9]
	v_lshl_add_u64 v[8:9], v[8:9], 0, v[2:3]
	s_mov_b64 s[48:49], 0
	v_mov_b32_e32 v19, v18
	v_mov_b32_e32 v20, v17
	s_branch .LBB34_14
.LBB34_13:                              ;   in Loop: Header=BB34_14 Depth=2
	s_or_b64 exec, exec, s[2:3]
	v_cmp_le_i32_e64 s[0:1], s22, v20
	v_lshl_add_u64 v[8:9], v[8:9], 0, s[36:37]
	s_or_b64 s[48:49], s[0:1], s[48:49]
	s_waitcnt vmcnt(0)
	v_fmac_f64_e32 v[4:5], v[10:11], v[12:13]
	s_andn2_b64 exec, exec, s[48:49]
	s_cbranch_execz .LBB34_3
.LBB34_14:                              ;   Parent Loop BB34_6 Depth=1
                                        ; =>  This Loop Header: Depth=2
                                        ;       Child Loop BB34_20 Depth 3
	global_load_dwordx2 v[10:11], v[8:9], off
	v_mul_lo_u32 v12, v19, s13
	v_add_u32_e32 v14, s25, v12
	v_cmp_lt_i32_e64 s[0:1], -1, v14
	v_mov_b64_e32 v[12:13], 0
	s_and_saveexec_b64 s[50:51], s[0:1]
	s_cbranch_execz .LBB34_18
; %bb.15:                               ;   in Loop: Header=BB34_14 Depth=2
	v_mul_lo_u32 v12, v20, s12
	v_add_u32_e32 v21, s29, v12
	v_cmp_gt_i32_e64 s[0:1], s19, v14
	v_cmp_gt_i32_e64 s[4:5], s18, v21
	v_cmp_lt_i32_e64 s[2:3], -1, v21
	s_and_b64 s[0:1], s[0:1], s[4:5]
	s_and_b64 s[2:3], s[0:1], s[2:3]
	v_mov_b64_e32 v[12:13], 0
	s_and_saveexec_b64 s[0:1], s[2:3]
	s_cbranch_execz .LBB34_17
; %bb.16:                               ;   in Loop: Header=BB34_14 Depth=2
	v_mad_u64_u32 v[12:13], s[2:3], v21, s19, v[14:15]
	v_mov_b32_e32 v13, v3
	v_lshl_add_u64 v[12:13], v[12:13], 3, v[6:7]
	global_load_dwordx2 v[12:13], v[12:13], off
.LBB34_17:                              ;   in Loop: Header=BB34_14 Depth=2
	s_or_b64 exec, exec, s[0:1]
.LBB34_18:                              ;   in Loop: Header=BB34_14 Depth=2
	s_or_b64 exec, exec, s[50:51]
	v_add_u32_e32 v19, 64, v19
	v_cmp_le_i32_e64 s[0:1], s23, v19
	s_and_saveexec_b64 s[2:3], s[0:1]
	s_cbranch_execz .LBB34_13
; %bb.19:                               ;   in Loop: Header=BB34_14 Depth=2
	s_mov_b64 s[4:5], 0
.LBB34_20:                              ;   Parent Loop BB34_6 Depth=1
                                        ;     Parent Loop BB34_14 Depth=2
                                        ; =>    This Inner Loop Header: Depth=3
	v_subrev_u32_e32 v19, s23, v19
	v_cmp_gt_i32_e64 s[0:1], s23, v19
	s_or_b64 s[4:5], s[0:1], s[4:5]
	v_add_u32_e32 v20, 1, v20
	s_andn2_b64 exec, exec, s[4:5]
	s_cbranch_execnz .LBB34_20
; %bb.21:                               ;   in Loop: Header=BB34_14 Depth=2
	s_or_b64 exec, exec, s[4:5]
	s_branch .LBB34_13
.LBB34_22:
	s_or_b64 exec, exec, s[14:15]
.LBB34_23:
	s_or_b64 exec, exec, s[40:41]
	s_bcnt1_i32_b32 s0, s52
	v_lshl_add_u32 v1, v0, 3, 0
	s_cmp_lg_u32 s0, 1
	s_mov_b64 s[0:1], -1
	ds_write_b64 v1, v[4:5]
	s_waitcnt lgkmcnt(0)
	s_barrier
	s_cbranch_scc1 .LBB34_32
; %bb.24:
	s_andn2_b64 vcc, exec, s[0:1]
	s_cbranch_vccnz .LBB34_28
.LBB34_25:
	s_cmp_lt_u32 s52, 2
	s_cbranch_scc0 .LBB34_30
.LBB34_26:
	v_cmp_eq_u32_e32 vcc, 0, v0
	s_and_saveexec_b64 s[0:1], vcc
	s_cbranch_execz .LBB34_28
; %bb.27:
	s_mul_i32 s0, s7, s33
	s_ashr_i32 s1, s0, 31
	s_lshl_b64 s[0:1], s[0:1], 3
	s_add_u32 s2, s34, s0
	s_mul_i32 s0, s8, s20
	s_addc_u32 s3, s35, s1
	s_ashr_i32 s1, s0, 31
	s_lshl_b64 s[0:1], s[0:1], 3
	s_add_u32 s2, s2, s0
	s_mul_i32 s0, s9, s16
	s_addc_u32 s3, s3, s1
	s_ashr_i32 s1, s0, 31
	s_lshl_b64 s[0:1], s[0:1], 3
	v_mov_b32_e32 v2, 0
	s_add_u32 s2, s2, s0
	s_mul_i32 s0, s10, s6
	ds_read_b64 v[0:1], v2
	s_addc_u32 s3, s3, s1
	s_ashr_i32 s1, s0, 31
	s_lshl_b64 s[0:1], s[0:1], 3
	s_add_u32 s0, s2, s0
	s_addc_u32 s1, s3, s1
	s_waitcnt lgkmcnt(0)
	global_store_dwordx2 v2, v[0:1], s[0:1]
.LBB34_28:
	s_endpgm
.LBB34_29:                              ;   in Loop: Header=BB34_30 Depth=1
	s_or_b64 exec, exec, s[0:1]
	s_cmp_lt_u32 s52, 4
	s_mov_b32 s52, s2
	s_waitcnt lgkmcnt(0)
	s_barrier
	s_cbranch_scc1 .LBB34_26
.LBB34_30:                              ; =>This Inner Loop Header: Depth=1
	s_lshr_b32 s2, s52, 1
	v_cmp_gt_u32_e32 vcc, s2, v0
	s_and_saveexec_b64 s[0:1], vcc
	s_cbranch_execz .LBB34_29
; %bb.31:                               ;   in Loop: Header=BB34_30 Depth=1
	v_lshl_add_u32 v2, s2, 3, v1
	ds_read_b64 v[2:3], v2
	ds_read_b64 v[4:5], v1
	s_waitcnt lgkmcnt(0)
	v_add_f64 v[2:3], v[2:3], v[4:5]
	ds_write_b64 v1, v[2:3]
	s_branch .LBB34_29
.LBB34_32:
	s_trap 2
	; divergent unreachable
	s_cbranch_execz .LBB34_25
	s_branch .LBB34_28
	.section	.rodata,"a",@progbits
	.p2align	6, 0x0
	.amdhsa_kernel _ZN2at6native12_GLOBAL__N_144conv_depthwise3d_cuda_backward_weight_kernelIddLin1ELin1EEEvN5torch10headeronly6detail27GenericPackedTensorAccessorINS5_14TensorAccessorIN3c108ArrayRefIlEEKT_Lm4ENS4_16DefaultPtrTraitsEiEENS_6detail16IndexBoundsCheckILm5EiEESC_Lm5ESD_iEESI_NS6_INS7_ISA_SB_Lm4ESD_iEESH_SB_Lm5ESD_iEEiiiiiiiii
		.amdhsa_group_segment_fixed_size 0
		.amdhsa_private_segment_fixed_size 0
		.amdhsa_kernarg_size 440
		.amdhsa_user_sgpr_count 2
		.amdhsa_user_sgpr_dispatch_ptr 0
		.amdhsa_user_sgpr_queue_ptr 0
		.amdhsa_user_sgpr_kernarg_segment_ptr 1
		.amdhsa_user_sgpr_dispatch_id 0
		.amdhsa_user_sgpr_kernarg_preload_length 0
		.amdhsa_user_sgpr_kernarg_preload_offset 0
		.amdhsa_user_sgpr_private_segment_size 0
		.amdhsa_uses_dynamic_stack 0
		.amdhsa_enable_private_segment 0
		.amdhsa_system_sgpr_workgroup_id_x 1
		.amdhsa_system_sgpr_workgroup_id_y 0
		.amdhsa_system_sgpr_workgroup_id_z 0
		.amdhsa_system_sgpr_workgroup_info 0
		.amdhsa_system_vgpr_workitem_id 0
		.amdhsa_next_free_vgpr 22
		.amdhsa_next_free_sgpr 55
		.amdhsa_accum_offset 24
		.amdhsa_reserve_vcc 1
		.amdhsa_float_round_mode_32 0
		.amdhsa_float_round_mode_16_64 0
		.amdhsa_float_denorm_mode_32 3
		.amdhsa_float_denorm_mode_16_64 3
		.amdhsa_dx10_clamp 1
		.amdhsa_ieee_mode 1
		.amdhsa_fp16_overflow 0
		.amdhsa_tg_split 0
		.amdhsa_exception_fp_ieee_invalid_op 0
		.amdhsa_exception_fp_denorm_src 0
		.amdhsa_exception_fp_ieee_div_zero 0
		.amdhsa_exception_fp_ieee_overflow 0
		.amdhsa_exception_fp_ieee_underflow 0
		.amdhsa_exception_fp_ieee_inexact 0
		.amdhsa_exception_int_div_zero 0
	.end_amdhsa_kernel
	.section	.text._ZN2at6native12_GLOBAL__N_144conv_depthwise3d_cuda_backward_weight_kernelIddLin1ELin1EEEvN5torch10headeronly6detail27GenericPackedTensorAccessorINS5_14TensorAccessorIN3c108ArrayRefIlEEKT_Lm4ENS4_16DefaultPtrTraitsEiEENS_6detail16IndexBoundsCheckILm5EiEESC_Lm5ESD_iEESI_NS6_INS7_ISA_SB_Lm4ESD_iEESH_SB_Lm5ESD_iEEiiiiiiiii,"axG",@progbits,_ZN2at6native12_GLOBAL__N_144conv_depthwise3d_cuda_backward_weight_kernelIddLin1ELin1EEEvN5torch10headeronly6detail27GenericPackedTensorAccessorINS5_14TensorAccessorIN3c108ArrayRefIlEEKT_Lm4ENS4_16DefaultPtrTraitsEiEENS_6detail16IndexBoundsCheckILm5EiEESC_Lm5ESD_iEESI_NS6_INS7_ISA_SB_Lm4ESD_iEESH_SB_Lm5ESD_iEEiiiiiiiii,comdat
.Lfunc_end34:
	.size	_ZN2at6native12_GLOBAL__N_144conv_depthwise3d_cuda_backward_weight_kernelIddLin1ELin1EEEvN5torch10headeronly6detail27GenericPackedTensorAccessorINS5_14TensorAccessorIN3c108ArrayRefIlEEKT_Lm4ENS4_16DefaultPtrTraitsEiEENS_6detail16IndexBoundsCheckILm5EiEESC_Lm5ESD_iEESI_NS6_INS7_ISA_SB_Lm4ESD_iEESH_SB_Lm5ESD_iEEiiiiiiiii, .Lfunc_end34-_ZN2at6native12_GLOBAL__N_144conv_depthwise3d_cuda_backward_weight_kernelIddLin1ELin1EEEvN5torch10headeronly6detail27GenericPackedTensorAccessorINS5_14TensorAccessorIN3c108ArrayRefIlEEKT_Lm4ENS4_16DefaultPtrTraitsEiEENS_6detail16IndexBoundsCheckILm5EiEESC_Lm5ESD_iEESI_NS6_INS7_ISA_SB_Lm4ESD_iEESH_SB_Lm5ESD_iEEiiiiiiiii
                                        ; -- End function
	.set _ZN2at6native12_GLOBAL__N_144conv_depthwise3d_cuda_backward_weight_kernelIddLin1ELin1EEEvN5torch10headeronly6detail27GenericPackedTensorAccessorINS5_14TensorAccessorIN3c108ArrayRefIlEEKT_Lm4ENS4_16DefaultPtrTraitsEiEENS_6detail16IndexBoundsCheckILm5EiEESC_Lm5ESD_iEESI_NS6_INS7_ISA_SB_Lm4ESD_iEESH_SB_Lm5ESD_iEEiiiiiiiii.num_vgpr, 22
	.set _ZN2at6native12_GLOBAL__N_144conv_depthwise3d_cuda_backward_weight_kernelIddLin1ELin1EEEvN5torch10headeronly6detail27GenericPackedTensorAccessorINS5_14TensorAccessorIN3c108ArrayRefIlEEKT_Lm4ENS4_16DefaultPtrTraitsEiEENS_6detail16IndexBoundsCheckILm5EiEESC_Lm5ESD_iEESI_NS6_INS7_ISA_SB_Lm4ESD_iEESH_SB_Lm5ESD_iEEiiiiiiiii.num_agpr, 0
	.set _ZN2at6native12_GLOBAL__N_144conv_depthwise3d_cuda_backward_weight_kernelIddLin1ELin1EEEvN5torch10headeronly6detail27GenericPackedTensorAccessorINS5_14TensorAccessorIN3c108ArrayRefIlEEKT_Lm4ENS4_16DefaultPtrTraitsEiEENS_6detail16IndexBoundsCheckILm5EiEESC_Lm5ESD_iEESI_NS6_INS7_ISA_SB_Lm4ESD_iEESH_SB_Lm5ESD_iEEiiiiiiiii.numbered_sgpr, 55
	.set _ZN2at6native12_GLOBAL__N_144conv_depthwise3d_cuda_backward_weight_kernelIddLin1ELin1EEEvN5torch10headeronly6detail27GenericPackedTensorAccessorINS5_14TensorAccessorIN3c108ArrayRefIlEEKT_Lm4ENS4_16DefaultPtrTraitsEiEENS_6detail16IndexBoundsCheckILm5EiEESC_Lm5ESD_iEESI_NS6_INS7_ISA_SB_Lm4ESD_iEESH_SB_Lm5ESD_iEEiiiiiiiii.num_named_barrier, 0
	.set _ZN2at6native12_GLOBAL__N_144conv_depthwise3d_cuda_backward_weight_kernelIddLin1ELin1EEEvN5torch10headeronly6detail27GenericPackedTensorAccessorINS5_14TensorAccessorIN3c108ArrayRefIlEEKT_Lm4ENS4_16DefaultPtrTraitsEiEENS_6detail16IndexBoundsCheckILm5EiEESC_Lm5ESD_iEESI_NS6_INS7_ISA_SB_Lm4ESD_iEESH_SB_Lm5ESD_iEEiiiiiiiii.private_seg_size, 0
	.set _ZN2at6native12_GLOBAL__N_144conv_depthwise3d_cuda_backward_weight_kernelIddLin1ELin1EEEvN5torch10headeronly6detail27GenericPackedTensorAccessorINS5_14TensorAccessorIN3c108ArrayRefIlEEKT_Lm4ENS4_16DefaultPtrTraitsEiEENS_6detail16IndexBoundsCheckILm5EiEESC_Lm5ESD_iEESI_NS6_INS7_ISA_SB_Lm4ESD_iEESH_SB_Lm5ESD_iEEiiiiiiiii.uses_vcc, 1
	.set _ZN2at6native12_GLOBAL__N_144conv_depthwise3d_cuda_backward_weight_kernelIddLin1ELin1EEEvN5torch10headeronly6detail27GenericPackedTensorAccessorINS5_14TensorAccessorIN3c108ArrayRefIlEEKT_Lm4ENS4_16DefaultPtrTraitsEiEENS_6detail16IndexBoundsCheckILm5EiEESC_Lm5ESD_iEESI_NS6_INS7_ISA_SB_Lm4ESD_iEESH_SB_Lm5ESD_iEEiiiiiiiii.uses_flat_scratch, 0
	.set _ZN2at6native12_GLOBAL__N_144conv_depthwise3d_cuda_backward_weight_kernelIddLin1ELin1EEEvN5torch10headeronly6detail27GenericPackedTensorAccessorINS5_14TensorAccessorIN3c108ArrayRefIlEEKT_Lm4ENS4_16DefaultPtrTraitsEiEENS_6detail16IndexBoundsCheckILm5EiEESC_Lm5ESD_iEESI_NS6_INS7_ISA_SB_Lm4ESD_iEESH_SB_Lm5ESD_iEEiiiiiiiii.has_dyn_sized_stack, 0
	.set _ZN2at6native12_GLOBAL__N_144conv_depthwise3d_cuda_backward_weight_kernelIddLin1ELin1EEEvN5torch10headeronly6detail27GenericPackedTensorAccessorINS5_14TensorAccessorIN3c108ArrayRefIlEEKT_Lm4ENS4_16DefaultPtrTraitsEiEENS_6detail16IndexBoundsCheckILm5EiEESC_Lm5ESD_iEESI_NS6_INS7_ISA_SB_Lm4ESD_iEESH_SB_Lm5ESD_iEEiiiiiiiii.has_recursion, 0
	.set _ZN2at6native12_GLOBAL__N_144conv_depthwise3d_cuda_backward_weight_kernelIddLin1ELin1EEEvN5torch10headeronly6detail27GenericPackedTensorAccessorINS5_14TensorAccessorIN3c108ArrayRefIlEEKT_Lm4ENS4_16DefaultPtrTraitsEiEENS_6detail16IndexBoundsCheckILm5EiEESC_Lm5ESD_iEESI_NS6_INS7_ISA_SB_Lm4ESD_iEESH_SB_Lm5ESD_iEEiiiiiiiii.has_indirect_call, 0
	.section	.AMDGPU.csdata,"",@progbits
; Kernel info:
; codeLenInByte = 1796
; TotalNumSgprs: 61
; NumVgprs: 22
; NumAgprs: 0
; TotalNumVgprs: 22
; ScratchSize: 0
; MemoryBound: 0
; FloatMode: 240
; IeeeMode: 1
; LDSByteSize: 0 bytes/workgroup (compile time only)
; SGPRBlocks: 7
; VGPRBlocks: 2
; NumSGPRsForWavesPerEU: 61
; NumVGPRsForWavesPerEU: 22
; AccumOffset: 24
; Occupancy: 8
; WaveLimiterHint : 1
; COMPUTE_PGM_RSRC2:SCRATCH_EN: 0
; COMPUTE_PGM_RSRC2:USER_SGPR: 2
; COMPUTE_PGM_RSRC2:TRAP_HANDLER: 0
; COMPUTE_PGM_RSRC2:TGID_X_EN: 1
; COMPUTE_PGM_RSRC2:TGID_Y_EN: 0
; COMPUTE_PGM_RSRC2:TGID_Z_EN: 0
; COMPUTE_PGM_RSRC2:TIDIG_COMP_CNT: 0
; COMPUTE_PGM_RSRC3_GFX90A:ACCUM_OFFSET: 5
; COMPUTE_PGM_RSRC3_GFX90A:TG_SPLIT: 0
	.section	.text._ZN2at6native12_GLOBAL__N_144conv_depthwise3d_cuda_backward_weight_kernelIffLi1ELi1EEEvN5torch10headeronly6detail27GenericPackedTensorAccessorINS5_14TensorAccessorIN3c108ArrayRefIlEEKT_Lm4ENS4_16DefaultPtrTraitsEiEENS_6detail16IndexBoundsCheckILm5EiEESC_Lm5ESD_iEESI_NS6_INS7_ISA_SB_Lm4ESD_iEESH_SB_Lm5ESD_iEEiiiiiiiii,"axG",@progbits,_ZN2at6native12_GLOBAL__N_144conv_depthwise3d_cuda_backward_weight_kernelIffLi1ELi1EEEvN5torch10headeronly6detail27GenericPackedTensorAccessorINS5_14TensorAccessorIN3c108ArrayRefIlEEKT_Lm4ENS4_16DefaultPtrTraitsEiEENS_6detail16IndexBoundsCheckILm5EiEESC_Lm5ESD_iEESI_NS6_INS7_ISA_SB_Lm4ESD_iEESH_SB_Lm5ESD_iEEiiiiiiiii,comdat
	.globl	_ZN2at6native12_GLOBAL__N_144conv_depthwise3d_cuda_backward_weight_kernelIffLi1ELi1EEEvN5torch10headeronly6detail27GenericPackedTensorAccessorINS5_14TensorAccessorIN3c108ArrayRefIlEEKT_Lm4ENS4_16DefaultPtrTraitsEiEENS_6detail16IndexBoundsCheckILm5EiEESC_Lm5ESD_iEESI_NS6_INS7_ISA_SB_Lm4ESD_iEESH_SB_Lm5ESD_iEEiiiiiiiii ; -- Begin function _ZN2at6native12_GLOBAL__N_144conv_depthwise3d_cuda_backward_weight_kernelIffLi1ELi1EEEvN5torch10headeronly6detail27GenericPackedTensorAccessorINS5_14TensorAccessorIN3c108ArrayRefIlEEKT_Lm4ENS4_16DefaultPtrTraitsEiEENS_6detail16IndexBoundsCheckILm5EiEESC_Lm5ESD_iEESI_NS6_INS7_ISA_SB_Lm4ESD_iEESH_SB_Lm5ESD_iEEiiiiiiiii
	.p2align	8
	.type	_ZN2at6native12_GLOBAL__N_144conv_depthwise3d_cuda_backward_weight_kernelIffLi1ELi1EEEvN5torch10headeronly6detail27GenericPackedTensorAccessorINS5_14TensorAccessorIN3c108ArrayRefIlEEKT_Lm4ENS4_16DefaultPtrTraitsEiEENS_6detail16IndexBoundsCheckILm5EiEESC_Lm5ESD_iEESI_NS6_INS7_ISA_SB_Lm4ESD_iEESH_SB_Lm5ESD_iEEiiiiiiiii,@function
_ZN2at6native12_GLOBAL__N_144conv_depthwise3d_cuda_backward_weight_kernelIffLi1ELi1EEEvN5torch10headeronly6detail27GenericPackedTensorAccessorINS5_14TensorAccessorIN3c108ArrayRefIlEEKT_Lm4ENS4_16DefaultPtrTraitsEiEENS_6detail16IndexBoundsCheckILm5EiEESC_Lm5ESD_iEESI_NS6_INS7_ISA_SB_Lm4ESD_iEESH_SB_Lm5ESD_iEEiiiiiiiii: ; @_ZN2at6native12_GLOBAL__N_144conv_depthwise3d_cuda_backward_weight_kernelIffLi1ELi1EEEvN5torch10headeronly6detail27GenericPackedTensorAccessorINS5_14TensorAccessorIN3c108ArrayRefIlEEKT_Lm4ENS4_16DefaultPtrTraitsEiEENS_6detail16IndexBoundsCheckILm5EiEESC_Lm5ESD_iEESI_NS6_INS7_ISA_SB_Lm4ESD_iEESH_SB_Lm5ESD_iEEiiiiiiiii
; %bb.0:
	s_load_dwordx4 s[4:7], s[0:1], 0x70
	s_add_u32 s20, s0, 0x60
	s_addc_u32 s21, s1, 0
	s_load_dwordx4 s[12:15], s[0:1], 0x3c
	s_load_dwordx4 s[16:19], s[0:1], 0xc
	s_waitcnt lgkmcnt(0)
	v_cvt_f32_u32_e32 v1, s6
	v_cvt_f32_u32_e32 v2, s5
	s_sub_i32 s3, 0, s6
	v_rcp_iflag_f32_e32 v1, v1
	v_rcp_iflag_f32_e32 v2, v2
	v_mul_f32_e32 v1, 0x4f7ffffe, v1
	v_cvt_u32_f32_e32 v1, v1
	v_mul_f32_e32 v2, 0x4f7ffffe, v2
	v_cvt_u32_f32_e32 v2, v2
	v_readfirstlane_b32 s8, v1
	s_mul_i32 s3, s3, s8
	s_mul_hi_u32 s3, s8, s3
	s_add_i32 s8, s8, s3
	s_mul_hi_u32 s3, s2, s8
	s_mul_i32 s8, s3, s6
	s_sub_i32 s8, s2, s8
	s_add_i32 s10, s3, 1
	s_sub_i32 s11, s8, s6
	s_cmp_ge_u32 s8, s6
	s_cselect_b32 s3, s10, s3
	s_cselect_b32 s8, s11, s8
	s_add_i32 s10, s3, 1
	s_cmp_ge_u32 s8, s6
	v_cvt_f32_u32_e32 v1, s4
	v_readfirstlane_b32 s9, v2
	s_cselect_b32 s3, s10, s3
	s_sub_i32 s8, 0, s5
	s_mul_i32 s8, s8, s9
	s_mul_hi_u32 s8, s9, s8
	s_add_i32 s9, s9, s8
	v_rcp_iflag_f32_e32 v1, v1
	s_mul_hi_u32 s8, s3, s9
	s_mul_i32 s9, s8, s5
	s_sub_i32 s9, s3, s9
	s_add_i32 s10, s8, 1
	s_sub_i32 s11, s9, s5
	v_mul_f32_e32 v1, 0x4f7ffffe, v1
	s_cmp_ge_u32 s9, s5
	v_cvt_u32_f32_e32 v1, v1
	s_cselect_b32 s8, s10, s8
	s_cselect_b32 s9, s11, s9
	s_add_i32 s10, s8, 1
	s_cmp_ge_u32 s9, s5
	s_cselect_b32 s22, s10, s8
	s_sub_i32 s8, 0, s4
	v_readfirstlane_b32 s9, v1
	s_mul_i32 s8, s8, s9
	s_mul_hi_u32 s8, s9, s8
	s_add_i32 s9, s9, s8
	s_mul_hi_u32 s8, s22, s9
	s_mul_i32 s9, s8, s4
	s_sub_i32 s9, s22, s9
	s_add_i32 s10, s8, 1
	s_sub_i32 s11, s9, s4
	s_cmp_ge_u32 s9, s4
	s_cselect_b32 s8, s10, s8
	s_cselect_b32 s9, s11, s9
	s_add_i32 s10, s8, 1
	s_cmp_ge_u32 s9, s4
	s_cselect_b32 s33, s10, s8
	s_abs_i32 s8, s12
	v_cvt_f32_u32_e32 v1, s8
	s_xor_b32 s9, s16, s12
	s_sub_i32 s11, 0, s8
	s_abs_i32 s10, s16
	v_rcp_iflag_f32_e32 v1, v1
	s_ashr_i32 s9, s9, 31
	v_mul_f32_e32 v1, 0x4f7ffffe, v1
	v_cvt_u32_f32_e32 v1, v1
	s_nop 0
	v_readfirstlane_b32 s12, v1
	s_mul_i32 s11, s11, s12
	s_mul_hi_u32 s11, s12, s11
	s_add_i32 s12, s12, s11
	s_mul_hi_u32 s11, s10, s12
	s_mul_i32 s12, s11, s8
	s_sub_i32 s10, s10, s12
	s_add_i32 s12, s11, 1
	s_sub_i32 s16, s10, s8
	s_cmp_ge_u32 s10, s8
	s_cselect_b32 s11, s12, s11
	s_cselect_b32 s10, s16, s10
	s_add_i32 s12, s11, 1
	s_cmp_ge_u32 s10, s8
	s_cselect_b32 s8, s12, s11
	s_xor_b32 s8, s8, s9
	s_sub_i32 s24, s8, s9
	s_abs_i32 s23, s24
	v_cvt_f32_u32_e32 v1, s23
	s_load_dword s8, s[0:1], 0x68
	v_rcp_iflag_f32_e32 v1, v1
	s_waitcnt lgkmcnt(0)
	s_cmp_ge_i32 s33, s8
	v_mul_f32_e32 v1, 0x4f7ffffe, v1
	v_cvt_u32_f32_e32 v1, v1
	s_nop 0
	v_readfirstlane_b32 s25, v1
	s_cbranch_scc1 .LBB35_28
; %bb.1:
	s_mul_i32 s6, s3, s6
	s_sub_i32 s6, s2, s6
	s_mul_i32 s2, s22, s5
	s_load_dwordx2 s[34:35], s[20:21], 0x0
	s_load_dwordx4 s[8:11], s[20:21], 0x24
	s_sub_i32 s12, s3, s2
	s_load_dword s2, s[0:1], 0xc4
	s_load_dword s51, s[0:1], 0x38
	s_mul_i32 s3, s33, s4
	v_lshrrev_b32_e32 v1, 6, v0
	s_sub_i32 s16, s22, s3
	s_waitcnt lgkmcnt(0)
	s_and_b32 s50, s2, 0xffff
	s_mul_i32 s51, s51, s17
	v_cmp_gt_i32_e32 vcc, s51, v1
	v_mov_b32_e32 v11, 0
	s_and_saveexec_b64 s[36:37], vcc
	s_cbranch_execz .LBB35_23
; %bb.2:
	s_sub_i32 s5, 0, s23
	s_mul_i32 s5, s5, s25
	s_mul_hi_u32 s5, s25, s5
	s_abs_i32 s4, s33
	s_add_i32 s25, s25, s5
	s_ashr_i32 s2, s33, 31
	s_ashr_i32 s3, s24, 31
	s_mul_hi_u32 s5, s4, s25
	s_xor_b32 s20, s2, s3
	s_mul_i32 s2, s5, s23
	s_sub_i32 s2, s4, s2
	s_lshr_b32 s52, s50, 6
	s_add_i32 s3, s5, 1
	s_sub_i32 s4, s2, s23
	s_cmp_ge_u32 s2, s23
	s_cselect_b32 s3, s3, s5
	s_cselect_b32 s2, s4, s2
	s_add_i32 s4, s3, 1
	s_cmp_ge_u32 s2, s23
	s_cselect_b32 s4, s4, s3
	s_abs_i32 s5, s17
	v_cvt_f32_u32_e32 v3, s5
	s_xor_b32 s4, s4, s20
	s_sub_i32 s42, s4, s20
	s_sub_i32 s4, 0, s5
	v_rcp_iflag_f32_e32 v3, v3
	s_load_dwordx4 s[28:31], s[0:1], 0x9c
	s_load_dwordx2 s[2:3], s[0:1], 0xac
	s_ashr_i32 s24, s17, 31
	v_and_b32_e32 v2, 63, v0
	v_mul_f32_e32 v3, 0x4f7ffffe, v3
	v_cvt_u32_f32_e32 v3, v3
	v_mul_lo_u32 v4, s4, v3
	v_mul_hi_u32 v4, v3, v4
	v_add_u32_e32 v3, v3, v4
	v_mul_hi_u32 v3, v1, v3
	v_mul_lo_u32 v4, v3, s5
	v_sub_u32_e32 v4, v1, v4
	v_add_u32_e32 v5, 1, v3
	v_cmp_le_u32_e32 vcc, s5, v4
	s_nop 1
	v_cndmask_b32_e32 v3, v3, v5, vcc
	v_subrev_u32_e32 v5, s5, v4
	v_cndmask_b32_e32 v4, v4, v5, vcc
	v_add_u32_e32 v5, 1, v3
	v_cmp_le_u32_e32 vcc, s5, v4
	s_load_dwordx2 s[4:5], s[0:1], 0x0
	s_load_dwordx4 s[20:23], s[0:1], 0x1c
	v_cndmask_b32_e32 v3, v3, v5, vcc
	v_xor_b32_e32 v3, s24, v3
	v_subrev_u32_e32 v9, s24, v3
	s_load_dwordx2 s[40:41], s[0:1], 0x30
	s_load_dwordx4 s[24:27], s[0:1], 0x4c
	s_waitcnt lgkmcnt(0)
	s_mul_i32 s38, s21, s33
	s_mul_i32 s23, s16, s31
	s_ashr_i32 s39, s38, 31
	s_sub_i32 s23, s23, s28
	s_lshl_b64 s[0:1], s[38:39], 2
	s_add_u32 s38, s4, s0
	s_mul_i32 s0, s25, s42
	s_addc_u32 s39, s5, s1
	s_ashr_i32 s1, s0, 31
	s_lshl_b64 s[0:1], s[0:1], 2
	s_add_u32 s40, s40, s0
	s_addc_u32 s41, s41, s1
	s_abs_i32 s0, s19
	v_cvt_f32_u32_e32 v4, s0
	s_mul_i32 s1, s6, s3
	s_sub_i32 s21, s1, s30
	s_mul_i32 s1, s12, s2
	v_rcp_iflag_f32_e32 v4, v4
	s_sub_i32 s2, 0, s0
	s_sub_i32 s25, s1, s29
	s_ashr_i32 s1, s19, 31
	v_mul_f32_e32 v4, 0x4f7ffffe, v4
	v_cvt_u32_f32_e32 v4, v4
	v_mul_lo_u32 v3, v9, s17
	v_sub_u32_e32 v10, v1, v3
	v_mov_b32_e32 v3, 0
	v_mul_lo_u32 v5, s2, v4
	v_mul_hi_u32 v5, v4, v5
	v_add_u32_e32 v4, v4, v5
	v_mul_hi_u32 v4, v2, v4
	v_mul_lo_u32 v5, v4, s0
	v_sub_u32_e32 v5, v2, v5
	v_add_u32_e32 v6, 1, v4
	v_cmp_le_u32_e32 vcc, s0, v5
	s_mov_b64 s[28:29], 0
	s_mov_b64 s[30:31], 0x100
	v_cndmask_b32_e32 v4, v4, v6, vcc
	v_subrev_u32_e32 v6, s0, v5
	v_cndmask_b32_e32 v5, v5, v6, vcc
	v_add_u32_e32 v6, 1, v4
	v_cmp_le_u32_e32 vcc, s0, v5
	v_mov_b32_e32 v11, v3
	s_nop 0
	v_cndmask_b32_e32 v4, v4, v6, vcc
	v_xor_b32_e32 v4, s1, v4
	v_subrev_u32_e32 v12, s1, v4
	v_mul_lo_u32 v4, v12, s19
	v_cmp_gt_i32_e32 vcc, s18, v12
	v_sub_u32_e32 v13, v2, v4
	v_lshlrev_b32_e32 v2, 2, v2
	s_branch .LBB35_6
.LBB35_3:                               ;   in Loop: Header=BB35_6 Depth=1
	s_or_b64 exec, exec, s[46:47]
.LBB35_4:                               ;   in Loop: Header=BB35_6 Depth=1
	s_or_b64 exec, exec, s[44:45]
.LBB35_5:                               ;   in Loop: Header=BB35_6 Depth=1
	s_or_b64 exec, exec, s[42:43]
	v_add_u32_e32 v1, s52, v1
	v_cmp_le_i32_e64 s[0:1], s51, v1
	s_or_b64 s[28:29], s[0:1], s[28:29]
	v_add_u32_e32 v10, s52, v10
	s_andn2_b64 exec, exec, s[28:29]
	s_cbranch_execz .LBB35_22
.LBB35_6:                               ; =>This Loop Header: Depth=1
                                        ;     Child Loop BB35_8 Depth 2
                                        ;     Child Loop BB35_14 Depth 2
                                        ;       Child Loop BB35_20 Depth 3
	v_cmp_le_i32_e64 s[0:1], s17, v10
	s_and_saveexec_b64 s[2:3], s[0:1]
	s_cbranch_execz .LBB35_10
; %bb.7:                                ;   in Loop: Header=BB35_6 Depth=1
	s_mov_b64 s[4:5], 0
.LBB35_8:                               ;   Parent Loop BB35_6 Depth=1
                                        ; =>  This Inner Loop Header: Depth=2
	v_subrev_u32_e32 v10, s17, v10
	v_cmp_gt_i32_e64 s[0:1], s17, v10
	s_or_b64 s[4:5], s[0:1], s[4:5]
	v_add_u32_e32 v9, 1, v9
	s_andn2_b64 exec, exec, s[4:5]
	s_cbranch_execnz .LBB35_8
; %bb.9:                                ;   in Loop: Header=BB35_6 Depth=1
	s_or_b64 exec, exec, s[4:5]
.LBB35_10:                              ;   in Loop: Header=BB35_6 Depth=1
	s_or_b64 exec, exec, s[2:3]
	v_mul_lo_u32 v4, v10, s11
	v_add_u32_e32 v4, s23, v4
	v_cmp_lt_i32_e64 s[0:1], -1, v4
	v_cmp_gt_i32_e64 s[2:3], s13, v4
	s_and_b64 s[0:1], s[0:1], s[2:3]
	s_and_saveexec_b64 s[42:43], s[0:1]
	s_cbranch_execz .LBB35_5
; %bb.11:                               ;   in Loop: Header=BB35_6 Depth=1
	s_and_saveexec_b64 s[44:45], vcc
	s_cbranch_execz .LBB35_4
; %bb.12:                               ;   in Loop: Header=BB35_6 Depth=1
	v_mul_lo_u32 v6, s24, v9
	v_ashrrev_i32_e32 v7, 31, v6
	v_mul_lo_u32 v4, s26, v4
	v_lshl_add_u64 v[6:7], v[6:7], 2, s[40:41]
	v_ashrrev_i32_e32 v5, 31, v4
	v_lshl_add_u64 v[4:5], v[4:5], 2, v[6:7]
	v_mul_lo_u32 v6, s20, v9
	v_ashrrev_i32_e32 v7, 31, v6
	v_mul_lo_u32 v14, s22, v10
	v_lshl_add_u64 v[6:7], v[6:7], 2, s[38:39]
	v_ashrrev_i32_e32 v15, 31, v14
	v_lshl_add_u64 v[6:7], v[14:15], 2, v[6:7]
	v_lshl_add_u64 v[6:7], v[6:7], 0, v[2:3]
	s_mov_b64 s[46:47], 0
	v_mov_b32_e32 v14, v13
	v_mov_b32_e32 v15, v12
	s_branch .LBB35_14
.LBB35_13:                              ;   in Loop: Header=BB35_14 Depth=2
	s_or_b64 exec, exec, s[2:3]
	v_cmp_le_i32_e64 s[0:1], s18, v15
	v_lshl_add_u64 v[6:7], v[6:7], 0, s[30:31]
	s_or_b64 s[46:47], s[0:1], s[46:47]
	s_waitcnt vmcnt(0)
	v_fmac_f32_e32 v11, v16, v17
	s_andn2_b64 exec, exec, s[46:47]
	s_cbranch_execz .LBB35_3
.LBB35_14:                              ;   Parent Loop BB35_6 Depth=1
                                        ; =>  This Loop Header: Depth=2
                                        ;       Child Loop BB35_20 Depth 3
	global_load_dword v16, v[6:7], off
	v_add_u32_e32 v8, s21, v14
	v_cmp_lt_i32_e64 s[0:1], -1, v8
	v_mov_b32_e32 v17, 0
	s_and_saveexec_b64 s[48:49], s[0:1]
	s_cbranch_execz .LBB35_18
; %bb.15:                               ;   in Loop: Header=BB35_14 Depth=2
	v_add_u32_e32 v18, s25, v15
	v_cmp_gt_i32_e64 s[0:1], s15, v8
	v_cmp_gt_i32_e64 s[4:5], s14, v18
	v_cmp_lt_i32_e64 s[2:3], -1, v18
	s_and_b64 s[0:1], s[0:1], s[4:5]
	s_and_b64 s[2:3], s[0:1], s[2:3]
	v_mov_b32_e32 v17, 0
	s_and_saveexec_b64 s[0:1], s[2:3]
	s_cbranch_execz .LBB35_17
; %bb.16:                               ;   in Loop: Header=BB35_14 Depth=2
	v_mad_u64_u32 v[18:19], s[2:3], v18, s15, v[8:9]
	v_mov_b32_e32 v19, v3
	v_lshl_add_u64 v[18:19], v[18:19], 2, v[4:5]
	global_load_dword v17, v[18:19], off
.LBB35_17:                              ;   in Loop: Header=BB35_14 Depth=2
	s_or_b64 exec, exec, s[0:1]
.LBB35_18:                              ;   in Loop: Header=BB35_14 Depth=2
	s_or_b64 exec, exec, s[48:49]
	v_add_u32_e32 v14, 64, v14
	v_cmp_le_i32_e64 s[0:1], s19, v14
	s_and_saveexec_b64 s[2:3], s[0:1]
	s_cbranch_execz .LBB35_13
; %bb.19:                               ;   in Loop: Header=BB35_14 Depth=2
	s_mov_b64 s[4:5], 0
.LBB35_20:                              ;   Parent Loop BB35_6 Depth=1
                                        ;     Parent Loop BB35_14 Depth=2
                                        ; =>    This Inner Loop Header: Depth=3
	v_subrev_u32_e32 v14, s19, v14
	v_cmp_gt_i32_e64 s[0:1], s19, v14
	s_or_b64 s[4:5], s[0:1], s[4:5]
	v_add_u32_e32 v15, 1, v15
	s_andn2_b64 exec, exec, s[4:5]
	s_cbranch_execnz .LBB35_20
; %bb.21:                               ;   in Loop: Header=BB35_14 Depth=2
	s_or_b64 exec, exec, s[4:5]
	s_branch .LBB35_13
.LBB35_22:
	s_or_b64 exec, exec, s[28:29]
.LBB35_23:
	s_or_b64 exec, exec, s[36:37]
	s_bcnt1_i32_b32 s0, s50
	v_lshl_add_u32 v1, v0, 2, 0
	s_cmp_lg_u32 s0, 1
	s_mov_b64 s[0:1], -1
	ds_write_b32 v1, v11
	s_waitcnt lgkmcnt(0)
	s_barrier
	s_cbranch_scc1 .LBB35_32
; %bb.24:
	s_andn2_b64 vcc, exec, s[0:1]
	s_cbranch_vccnz .LBB35_28
.LBB35_25:
	s_cmp_lt_u32 s50, 2
	s_cbranch_scc0 .LBB35_30
.LBB35_26:
	v_cmp_eq_u32_e32 vcc, 0, v0
	s_and_saveexec_b64 s[0:1], vcc
	s_cbranch_execz .LBB35_28
; %bb.27:
	s_mul_i32 s0, s7, s33
	s_ashr_i32 s1, s0, 31
	s_lshl_b64 s[0:1], s[0:1], 2
	s_add_u32 s2, s34, s0
	s_mul_i32 s0, s8, s16
	s_addc_u32 s3, s35, s1
	s_ashr_i32 s1, s0, 31
	s_lshl_b64 s[0:1], s[0:1], 2
	s_add_u32 s2, s2, s0
	s_mul_i32 s0, s9, s12
	s_addc_u32 s3, s3, s1
	s_ashr_i32 s1, s0, 31
	s_lshl_b64 s[0:1], s[0:1], 2
	v_mov_b32_e32 v0, 0
	s_add_u32 s2, s2, s0
	s_mul_i32 s0, s10, s6
	ds_read_b32 v1, v0
	s_addc_u32 s3, s3, s1
	s_ashr_i32 s1, s0, 31
	s_lshl_b64 s[0:1], s[0:1], 2
	s_add_u32 s0, s2, s0
	s_addc_u32 s1, s3, s1
	s_waitcnt lgkmcnt(0)
	global_store_dword v0, v1, s[0:1]
.LBB35_28:
	s_endpgm
.LBB35_29:                              ;   in Loop: Header=BB35_30 Depth=1
	s_or_b64 exec, exec, s[0:1]
	s_cmp_lt_u32 s50, 4
	s_mov_b32 s50, s2
	s_waitcnt lgkmcnt(0)
	s_barrier
	s_cbranch_scc1 .LBB35_26
.LBB35_30:                              ; =>This Inner Loop Header: Depth=1
	s_lshr_b32 s2, s50, 1
	v_cmp_gt_u32_e32 vcc, s2, v0
	s_and_saveexec_b64 s[0:1], vcc
	s_cbranch_execz .LBB35_29
; %bb.31:                               ;   in Loop: Header=BB35_30 Depth=1
	v_lshl_add_u32 v2, s2, 2, v1
	ds_read_b32 v2, v2
	ds_read_b32 v3, v1
	s_waitcnt lgkmcnt(0)
	v_add_f32_e32 v2, v2, v3
	ds_write_b32 v1, v2
	s_branch .LBB35_29
.LBB35_32:
	s_trap 2
	; divergent unreachable
	s_cbranch_execz .LBB35_25
	s_branch .LBB35_28
	.section	.rodata,"a",@progbits
	.p2align	6, 0x0
	.amdhsa_kernel _ZN2at6native12_GLOBAL__N_144conv_depthwise3d_cuda_backward_weight_kernelIffLi1ELi1EEEvN5torch10headeronly6detail27GenericPackedTensorAccessorINS5_14TensorAccessorIN3c108ArrayRefIlEEKT_Lm4ENS4_16DefaultPtrTraitsEiEENS_6detail16IndexBoundsCheckILm5EiEESC_Lm5ESD_iEESI_NS6_INS7_ISA_SB_Lm4ESD_iEESH_SB_Lm5ESD_iEEiiiiiiiii
		.amdhsa_group_segment_fixed_size 0
		.amdhsa_private_segment_fixed_size 0
		.amdhsa_kernarg_size 440
		.amdhsa_user_sgpr_count 2
		.amdhsa_user_sgpr_dispatch_ptr 0
		.amdhsa_user_sgpr_queue_ptr 0
		.amdhsa_user_sgpr_kernarg_segment_ptr 1
		.amdhsa_user_sgpr_dispatch_id 0
		.amdhsa_user_sgpr_kernarg_preload_length 0
		.amdhsa_user_sgpr_kernarg_preload_offset 0
		.amdhsa_user_sgpr_private_segment_size 0
		.amdhsa_uses_dynamic_stack 0
		.amdhsa_enable_private_segment 0
		.amdhsa_system_sgpr_workgroup_id_x 1
		.amdhsa_system_sgpr_workgroup_id_y 0
		.amdhsa_system_sgpr_workgroup_id_z 0
		.amdhsa_system_sgpr_workgroup_info 0
		.amdhsa_system_vgpr_workitem_id 0
		.amdhsa_next_free_vgpr 20
		.amdhsa_next_free_sgpr 53
		.amdhsa_accum_offset 20
		.amdhsa_reserve_vcc 1
		.amdhsa_float_round_mode_32 0
		.amdhsa_float_round_mode_16_64 0
		.amdhsa_float_denorm_mode_32 3
		.amdhsa_float_denorm_mode_16_64 3
		.amdhsa_dx10_clamp 1
		.amdhsa_ieee_mode 1
		.amdhsa_fp16_overflow 0
		.amdhsa_tg_split 0
		.amdhsa_exception_fp_ieee_invalid_op 0
		.amdhsa_exception_fp_denorm_src 0
		.amdhsa_exception_fp_ieee_div_zero 0
		.amdhsa_exception_fp_ieee_overflow 0
		.amdhsa_exception_fp_ieee_underflow 0
		.amdhsa_exception_fp_ieee_inexact 0
		.amdhsa_exception_int_div_zero 0
	.end_amdhsa_kernel
	.section	.text._ZN2at6native12_GLOBAL__N_144conv_depthwise3d_cuda_backward_weight_kernelIffLi1ELi1EEEvN5torch10headeronly6detail27GenericPackedTensorAccessorINS5_14TensorAccessorIN3c108ArrayRefIlEEKT_Lm4ENS4_16DefaultPtrTraitsEiEENS_6detail16IndexBoundsCheckILm5EiEESC_Lm5ESD_iEESI_NS6_INS7_ISA_SB_Lm4ESD_iEESH_SB_Lm5ESD_iEEiiiiiiiii,"axG",@progbits,_ZN2at6native12_GLOBAL__N_144conv_depthwise3d_cuda_backward_weight_kernelIffLi1ELi1EEEvN5torch10headeronly6detail27GenericPackedTensorAccessorINS5_14TensorAccessorIN3c108ArrayRefIlEEKT_Lm4ENS4_16DefaultPtrTraitsEiEENS_6detail16IndexBoundsCheckILm5EiEESC_Lm5ESD_iEESI_NS6_INS7_ISA_SB_Lm4ESD_iEESH_SB_Lm5ESD_iEEiiiiiiiii,comdat
.Lfunc_end35:
	.size	_ZN2at6native12_GLOBAL__N_144conv_depthwise3d_cuda_backward_weight_kernelIffLi1ELi1EEEvN5torch10headeronly6detail27GenericPackedTensorAccessorINS5_14TensorAccessorIN3c108ArrayRefIlEEKT_Lm4ENS4_16DefaultPtrTraitsEiEENS_6detail16IndexBoundsCheckILm5EiEESC_Lm5ESD_iEESI_NS6_INS7_ISA_SB_Lm4ESD_iEESH_SB_Lm5ESD_iEEiiiiiiiii, .Lfunc_end35-_ZN2at6native12_GLOBAL__N_144conv_depthwise3d_cuda_backward_weight_kernelIffLi1ELi1EEEvN5torch10headeronly6detail27GenericPackedTensorAccessorINS5_14TensorAccessorIN3c108ArrayRefIlEEKT_Lm4ENS4_16DefaultPtrTraitsEiEENS_6detail16IndexBoundsCheckILm5EiEESC_Lm5ESD_iEESI_NS6_INS7_ISA_SB_Lm4ESD_iEESH_SB_Lm5ESD_iEEiiiiiiiii
                                        ; -- End function
	.set _ZN2at6native12_GLOBAL__N_144conv_depthwise3d_cuda_backward_weight_kernelIffLi1ELi1EEEvN5torch10headeronly6detail27GenericPackedTensorAccessorINS5_14TensorAccessorIN3c108ArrayRefIlEEKT_Lm4ENS4_16DefaultPtrTraitsEiEENS_6detail16IndexBoundsCheckILm5EiEESC_Lm5ESD_iEESI_NS6_INS7_ISA_SB_Lm4ESD_iEESH_SB_Lm5ESD_iEEiiiiiiiii.num_vgpr, 20
	.set _ZN2at6native12_GLOBAL__N_144conv_depthwise3d_cuda_backward_weight_kernelIffLi1ELi1EEEvN5torch10headeronly6detail27GenericPackedTensorAccessorINS5_14TensorAccessorIN3c108ArrayRefIlEEKT_Lm4ENS4_16DefaultPtrTraitsEiEENS_6detail16IndexBoundsCheckILm5EiEESC_Lm5ESD_iEESI_NS6_INS7_ISA_SB_Lm4ESD_iEESH_SB_Lm5ESD_iEEiiiiiiiii.num_agpr, 0
	.set _ZN2at6native12_GLOBAL__N_144conv_depthwise3d_cuda_backward_weight_kernelIffLi1ELi1EEEvN5torch10headeronly6detail27GenericPackedTensorAccessorINS5_14TensorAccessorIN3c108ArrayRefIlEEKT_Lm4ENS4_16DefaultPtrTraitsEiEENS_6detail16IndexBoundsCheckILm5EiEESC_Lm5ESD_iEESI_NS6_INS7_ISA_SB_Lm4ESD_iEESH_SB_Lm5ESD_iEEiiiiiiiii.numbered_sgpr, 53
	.set _ZN2at6native12_GLOBAL__N_144conv_depthwise3d_cuda_backward_weight_kernelIffLi1ELi1EEEvN5torch10headeronly6detail27GenericPackedTensorAccessorINS5_14TensorAccessorIN3c108ArrayRefIlEEKT_Lm4ENS4_16DefaultPtrTraitsEiEENS_6detail16IndexBoundsCheckILm5EiEESC_Lm5ESD_iEESI_NS6_INS7_ISA_SB_Lm4ESD_iEESH_SB_Lm5ESD_iEEiiiiiiiii.num_named_barrier, 0
	.set _ZN2at6native12_GLOBAL__N_144conv_depthwise3d_cuda_backward_weight_kernelIffLi1ELi1EEEvN5torch10headeronly6detail27GenericPackedTensorAccessorINS5_14TensorAccessorIN3c108ArrayRefIlEEKT_Lm4ENS4_16DefaultPtrTraitsEiEENS_6detail16IndexBoundsCheckILm5EiEESC_Lm5ESD_iEESI_NS6_INS7_ISA_SB_Lm4ESD_iEESH_SB_Lm5ESD_iEEiiiiiiiii.private_seg_size, 0
	.set _ZN2at6native12_GLOBAL__N_144conv_depthwise3d_cuda_backward_weight_kernelIffLi1ELi1EEEvN5torch10headeronly6detail27GenericPackedTensorAccessorINS5_14TensorAccessorIN3c108ArrayRefIlEEKT_Lm4ENS4_16DefaultPtrTraitsEiEENS_6detail16IndexBoundsCheckILm5EiEESC_Lm5ESD_iEESI_NS6_INS7_ISA_SB_Lm4ESD_iEESH_SB_Lm5ESD_iEEiiiiiiiii.uses_vcc, 1
	.set _ZN2at6native12_GLOBAL__N_144conv_depthwise3d_cuda_backward_weight_kernelIffLi1ELi1EEEvN5torch10headeronly6detail27GenericPackedTensorAccessorINS5_14TensorAccessorIN3c108ArrayRefIlEEKT_Lm4ENS4_16DefaultPtrTraitsEiEENS_6detail16IndexBoundsCheckILm5EiEESC_Lm5ESD_iEESI_NS6_INS7_ISA_SB_Lm4ESD_iEESH_SB_Lm5ESD_iEEiiiiiiiii.uses_flat_scratch, 0
	.set _ZN2at6native12_GLOBAL__N_144conv_depthwise3d_cuda_backward_weight_kernelIffLi1ELi1EEEvN5torch10headeronly6detail27GenericPackedTensorAccessorINS5_14TensorAccessorIN3c108ArrayRefIlEEKT_Lm4ENS4_16DefaultPtrTraitsEiEENS_6detail16IndexBoundsCheckILm5EiEESC_Lm5ESD_iEESI_NS6_INS7_ISA_SB_Lm4ESD_iEESH_SB_Lm5ESD_iEEiiiiiiiii.has_dyn_sized_stack, 0
	.set _ZN2at6native12_GLOBAL__N_144conv_depthwise3d_cuda_backward_weight_kernelIffLi1ELi1EEEvN5torch10headeronly6detail27GenericPackedTensorAccessorINS5_14TensorAccessorIN3c108ArrayRefIlEEKT_Lm4ENS4_16DefaultPtrTraitsEiEENS_6detail16IndexBoundsCheckILm5EiEESC_Lm5ESD_iEESI_NS6_INS7_ISA_SB_Lm4ESD_iEESH_SB_Lm5ESD_iEEiiiiiiiii.has_recursion, 0
	.set _ZN2at6native12_GLOBAL__N_144conv_depthwise3d_cuda_backward_weight_kernelIffLi1ELi1EEEvN5torch10headeronly6detail27GenericPackedTensorAccessorINS5_14TensorAccessorIN3c108ArrayRefIlEEKT_Lm4ENS4_16DefaultPtrTraitsEiEENS_6detail16IndexBoundsCheckILm5EiEESC_Lm5ESD_iEESI_NS6_INS7_ISA_SB_Lm4ESD_iEESH_SB_Lm5ESD_iEEiiiiiiiii.has_indirect_call, 0
	.section	.AMDGPU.csdata,"",@progbits
; Kernel info:
; codeLenInByte = 1788
; TotalNumSgprs: 59
; NumVgprs: 20
; NumAgprs: 0
; TotalNumVgprs: 20
; ScratchSize: 0
; MemoryBound: 0
; FloatMode: 240
; IeeeMode: 1
; LDSByteSize: 0 bytes/workgroup (compile time only)
; SGPRBlocks: 7
; VGPRBlocks: 2
; NumSGPRsForWavesPerEU: 59
; NumVGPRsForWavesPerEU: 20
; AccumOffset: 20
; Occupancy: 8
; WaveLimiterHint : 1
; COMPUTE_PGM_RSRC2:SCRATCH_EN: 0
; COMPUTE_PGM_RSRC2:USER_SGPR: 2
; COMPUTE_PGM_RSRC2:TRAP_HANDLER: 0
; COMPUTE_PGM_RSRC2:TGID_X_EN: 1
; COMPUTE_PGM_RSRC2:TGID_Y_EN: 0
; COMPUTE_PGM_RSRC2:TGID_Z_EN: 0
; COMPUTE_PGM_RSRC2:TIDIG_COMP_CNT: 0
; COMPUTE_PGM_RSRC3_GFX90A:ACCUM_OFFSET: 4
; COMPUTE_PGM_RSRC3_GFX90A:TG_SPLIT: 0
	.section	.text._ZN2at6native12_GLOBAL__N_144conv_depthwise3d_cuda_backward_weight_kernelIffLi2ELi2EEEvN5torch10headeronly6detail27GenericPackedTensorAccessorINS5_14TensorAccessorIN3c108ArrayRefIlEEKT_Lm4ENS4_16DefaultPtrTraitsEiEENS_6detail16IndexBoundsCheckILm5EiEESC_Lm5ESD_iEESI_NS6_INS7_ISA_SB_Lm4ESD_iEESH_SB_Lm5ESD_iEEiiiiiiiii,"axG",@progbits,_ZN2at6native12_GLOBAL__N_144conv_depthwise3d_cuda_backward_weight_kernelIffLi2ELi2EEEvN5torch10headeronly6detail27GenericPackedTensorAccessorINS5_14TensorAccessorIN3c108ArrayRefIlEEKT_Lm4ENS4_16DefaultPtrTraitsEiEENS_6detail16IndexBoundsCheckILm5EiEESC_Lm5ESD_iEESI_NS6_INS7_ISA_SB_Lm4ESD_iEESH_SB_Lm5ESD_iEEiiiiiiiii,comdat
	.globl	_ZN2at6native12_GLOBAL__N_144conv_depthwise3d_cuda_backward_weight_kernelIffLi2ELi2EEEvN5torch10headeronly6detail27GenericPackedTensorAccessorINS5_14TensorAccessorIN3c108ArrayRefIlEEKT_Lm4ENS4_16DefaultPtrTraitsEiEENS_6detail16IndexBoundsCheckILm5EiEESC_Lm5ESD_iEESI_NS6_INS7_ISA_SB_Lm4ESD_iEESH_SB_Lm5ESD_iEEiiiiiiiii ; -- Begin function _ZN2at6native12_GLOBAL__N_144conv_depthwise3d_cuda_backward_weight_kernelIffLi2ELi2EEEvN5torch10headeronly6detail27GenericPackedTensorAccessorINS5_14TensorAccessorIN3c108ArrayRefIlEEKT_Lm4ENS4_16DefaultPtrTraitsEiEENS_6detail16IndexBoundsCheckILm5EiEESC_Lm5ESD_iEESI_NS6_INS7_ISA_SB_Lm4ESD_iEESH_SB_Lm5ESD_iEEiiiiiiiii
	.p2align	8
	.type	_ZN2at6native12_GLOBAL__N_144conv_depthwise3d_cuda_backward_weight_kernelIffLi2ELi2EEEvN5torch10headeronly6detail27GenericPackedTensorAccessorINS5_14TensorAccessorIN3c108ArrayRefIlEEKT_Lm4ENS4_16DefaultPtrTraitsEiEENS_6detail16IndexBoundsCheckILm5EiEESC_Lm5ESD_iEESI_NS6_INS7_ISA_SB_Lm4ESD_iEESH_SB_Lm5ESD_iEEiiiiiiiii,@function
_ZN2at6native12_GLOBAL__N_144conv_depthwise3d_cuda_backward_weight_kernelIffLi2ELi2EEEvN5torch10headeronly6detail27GenericPackedTensorAccessorINS5_14TensorAccessorIN3c108ArrayRefIlEEKT_Lm4ENS4_16DefaultPtrTraitsEiEENS_6detail16IndexBoundsCheckILm5EiEESC_Lm5ESD_iEESI_NS6_INS7_ISA_SB_Lm4ESD_iEESH_SB_Lm5ESD_iEEiiiiiiiii: ; @_ZN2at6native12_GLOBAL__N_144conv_depthwise3d_cuda_backward_weight_kernelIffLi2ELi2EEEvN5torch10headeronly6detail27GenericPackedTensorAccessorINS5_14TensorAccessorIN3c108ArrayRefIlEEKT_Lm4ENS4_16DefaultPtrTraitsEiEENS_6detail16IndexBoundsCheckILm5EiEESC_Lm5ESD_iEESI_NS6_INS7_ISA_SB_Lm4ESD_iEESH_SB_Lm5ESD_iEEiiiiiiiii
; %bb.0:
	s_load_dwordx4 s[4:7], s[0:1], 0x70
	s_add_u32 s20, s0, 0x60
	s_addc_u32 s21, s1, 0
	s_load_dwordx4 s[12:15], s[0:1], 0x3c
	s_load_dwordx4 s[16:19], s[0:1], 0xc
	s_waitcnt lgkmcnt(0)
	v_cvt_f32_u32_e32 v1, s6
	v_cvt_f32_u32_e32 v2, s5
	s_sub_i32 s3, 0, s6
	v_rcp_iflag_f32_e32 v1, v1
	v_rcp_iflag_f32_e32 v2, v2
	v_mul_f32_e32 v1, 0x4f7ffffe, v1
	v_cvt_u32_f32_e32 v1, v1
	v_mul_f32_e32 v2, 0x4f7ffffe, v2
	v_cvt_u32_f32_e32 v2, v2
	v_readfirstlane_b32 s8, v1
	s_mul_i32 s3, s3, s8
	s_mul_hi_u32 s3, s8, s3
	s_add_i32 s8, s8, s3
	s_mul_hi_u32 s3, s2, s8
	s_mul_i32 s8, s3, s6
	s_sub_i32 s8, s2, s8
	s_add_i32 s10, s3, 1
	s_sub_i32 s11, s8, s6
	s_cmp_ge_u32 s8, s6
	s_cselect_b32 s3, s10, s3
	s_cselect_b32 s8, s11, s8
	s_add_i32 s10, s3, 1
	s_cmp_ge_u32 s8, s6
	v_cvt_f32_u32_e32 v1, s4
	v_readfirstlane_b32 s9, v2
	s_cselect_b32 s3, s10, s3
	s_sub_i32 s8, 0, s5
	s_mul_i32 s8, s8, s9
	s_mul_hi_u32 s8, s9, s8
	s_add_i32 s9, s9, s8
	v_rcp_iflag_f32_e32 v1, v1
	s_mul_hi_u32 s8, s3, s9
	s_mul_i32 s9, s8, s5
	s_sub_i32 s9, s3, s9
	s_add_i32 s10, s8, 1
	s_sub_i32 s11, s9, s5
	v_mul_f32_e32 v1, 0x4f7ffffe, v1
	s_cmp_ge_u32 s9, s5
	v_cvt_u32_f32_e32 v1, v1
	s_cselect_b32 s8, s10, s8
	s_cselect_b32 s9, s11, s9
	s_add_i32 s10, s8, 1
	s_cmp_ge_u32 s9, s5
	s_cselect_b32 s22, s10, s8
	s_sub_i32 s8, 0, s4
	v_readfirstlane_b32 s9, v1
	s_mul_i32 s8, s8, s9
	s_mul_hi_u32 s8, s9, s8
	s_add_i32 s9, s9, s8
	s_mul_hi_u32 s8, s22, s9
	s_mul_i32 s9, s8, s4
	s_sub_i32 s9, s22, s9
	s_add_i32 s10, s8, 1
	s_sub_i32 s11, s9, s4
	s_cmp_ge_u32 s9, s4
	s_cselect_b32 s8, s10, s8
	s_cselect_b32 s9, s11, s9
	s_add_i32 s10, s8, 1
	s_cmp_ge_u32 s9, s4
	s_cselect_b32 s33, s10, s8
	s_abs_i32 s8, s12
	v_cvt_f32_u32_e32 v1, s8
	s_xor_b32 s9, s16, s12
	s_sub_i32 s11, 0, s8
	s_abs_i32 s10, s16
	v_rcp_iflag_f32_e32 v1, v1
	s_ashr_i32 s9, s9, 31
	v_mul_f32_e32 v1, 0x4f7ffffe, v1
	v_cvt_u32_f32_e32 v1, v1
	s_nop 0
	v_readfirstlane_b32 s12, v1
	s_mul_i32 s11, s11, s12
	s_mul_hi_u32 s11, s12, s11
	s_add_i32 s12, s12, s11
	s_mul_hi_u32 s11, s10, s12
	s_mul_i32 s12, s11, s8
	s_sub_i32 s10, s10, s12
	s_add_i32 s12, s11, 1
	s_sub_i32 s16, s10, s8
	s_cmp_ge_u32 s10, s8
	s_cselect_b32 s11, s12, s11
	s_cselect_b32 s10, s16, s10
	s_add_i32 s12, s11, 1
	s_cmp_ge_u32 s10, s8
	s_cselect_b32 s8, s12, s11
	s_xor_b32 s8, s8, s9
	s_sub_i32 s24, s8, s9
	s_abs_i32 s23, s24
	v_cvt_f32_u32_e32 v1, s23
	s_load_dword s8, s[0:1], 0x68
	v_rcp_iflag_f32_e32 v1, v1
	s_waitcnt lgkmcnt(0)
	s_cmp_ge_i32 s33, s8
	v_mul_f32_e32 v1, 0x4f7ffffe, v1
	v_cvt_u32_f32_e32 v1, v1
	s_nop 0
	v_readfirstlane_b32 s25, v1
	s_cbranch_scc1 .LBB36_28
; %bb.1:
	s_mul_i32 s6, s3, s6
	s_sub_i32 s6, s2, s6
	s_mul_i32 s2, s22, s5
	s_load_dwordx2 s[34:35], s[20:21], 0x0
	s_load_dwordx4 s[8:11], s[20:21], 0x24
	s_sub_i32 s12, s3, s2
	s_load_dword s2, s[0:1], 0xc4
	s_load_dword s51, s[0:1], 0x38
	s_mul_i32 s3, s33, s4
	v_lshrrev_b32_e32 v1, 6, v0
	s_sub_i32 s16, s22, s3
	s_waitcnt lgkmcnt(0)
	s_and_b32 s50, s2, 0xffff
	s_mul_i32 s51, s51, s17
	v_cmp_gt_i32_e32 vcc, s51, v1
	v_mov_b32_e32 v11, 0
	s_and_saveexec_b64 s[36:37], vcc
	s_cbranch_execz .LBB36_23
; %bb.2:
	s_sub_i32 s5, 0, s23
	s_mul_i32 s5, s5, s25
	s_mul_hi_u32 s5, s25, s5
	s_abs_i32 s4, s33
	s_add_i32 s25, s25, s5
	s_ashr_i32 s2, s33, 31
	s_ashr_i32 s3, s24, 31
	s_mul_hi_u32 s5, s4, s25
	s_xor_b32 s20, s2, s3
	s_mul_i32 s2, s5, s23
	s_sub_i32 s2, s4, s2
	s_lshr_b32 s52, s50, 6
	s_add_i32 s3, s5, 1
	s_sub_i32 s4, s2, s23
	s_cmp_ge_u32 s2, s23
	s_cselect_b32 s3, s3, s5
	s_cselect_b32 s2, s4, s2
	s_add_i32 s4, s3, 1
	s_cmp_ge_u32 s2, s23
	s_cselect_b32 s4, s4, s3
	s_abs_i32 s5, s17
	v_cvt_f32_u32_e32 v3, s5
	s_xor_b32 s4, s4, s20
	s_sub_i32 s42, s4, s20
	s_sub_i32 s4, 0, s5
	v_rcp_iflag_f32_e32 v3, v3
	s_load_dwordx4 s[28:31], s[0:1], 0x9c
	s_load_dwordx2 s[2:3], s[0:1], 0xac
	s_ashr_i32 s24, s17, 31
	v_and_b32_e32 v2, 63, v0
	v_mul_f32_e32 v3, 0x4f7ffffe, v3
	v_cvt_u32_f32_e32 v3, v3
	v_mul_lo_u32 v4, s4, v3
	v_mul_hi_u32 v4, v3, v4
	v_add_u32_e32 v3, v3, v4
	v_mul_hi_u32 v3, v1, v3
	v_mul_lo_u32 v4, v3, s5
	v_sub_u32_e32 v4, v1, v4
	v_add_u32_e32 v5, 1, v3
	v_cmp_le_u32_e32 vcc, s5, v4
	s_nop 1
	v_cndmask_b32_e32 v3, v3, v5, vcc
	v_subrev_u32_e32 v5, s5, v4
	v_cndmask_b32_e32 v4, v4, v5, vcc
	v_add_u32_e32 v5, 1, v3
	v_cmp_le_u32_e32 vcc, s5, v4
	s_load_dwordx2 s[4:5], s[0:1], 0x0
	s_load_dwordx4 s[20:23], s[0:1], 0x1c
	v_cndmask_b32_e32 v3, v3, v5, vcc
	v_xor_b32_e32 v3, s24, v3
	v_subrev_u32_e32 v9, s24, v3
	s_load_dwordx2 s[40:41], s[0:1], 0x30
	s_load_dwordx4 s[24:27], s[0:1], 0x4c
	s_waitcnt lgkmcnt(0)
	s_mul_i32 s38, s21, s33
	s_mul_i32 s23, s16, s31
	s_ashr_i32 s39, s38, 31
	s_sub_i32 s23, s23, s28
	s_lshl_b64 s[0:1], s[38:39], 2
	s_add_u32 s38, s4, s0
	s_mul_i32 s0, s25, s42
	s_addc_u32 s39, s5, s1
	s_ashr_i32 s1, s0, 31
	s_lshl_b64 s[0:1], s[0:1], 2
	s_add_u32 s40, s40, s0
	s_addc_u32 s41, s41, s1
	s_abs_i32 s0, s19
	v_cvt_f32_u32_e32 v4, s0
	s_mul_i32 s1, s6, s3
	s_sub_i32 s21, s1, s30
	s_mul_i32 s1, s12, s2
	v_rcp_iflag_f32_e32 v4, v4
	s_sub_i32 s2, 0, s0
	s_sub_i32 s25, s1, s29
	s_ashr_i32 s1, s19, 31
	v_mul_f32_e32 v4, 0x4f7ffffe, v4
	v_cvt_u32_f32_e32 v4, v4
	v_mul_lo_u32 v3, v9, s17
	v_sub_u32_e32 v10, v1, v3
	v_mov_b32_e32 v3, 0
	v_mul_lo_u32 v5, s2, v4
	v_mul_hi_u32 v5, v4, v5
	v_add_u32_e32 v4, v4, v5
	v_mul_hi_u32 v4, v2, v4
	v_mul_lo_u32 v5, v4, s0
	v_sub_u32_e32 v5, v2, v5
	v_add_u32_e32 v6, 1, v4
	v_cmp_le_u32_e32 vcc, s0, v5
	s_mov_b64 s[28:29], 0
	s_mov_b64 s[30:31], 0x100
	v_cndmask_b32_e32 v4, v4, v6, vcc
	v_subrev_u32_e32 v6, s0, v5
	v_cndmask_b32_e32 v5, v5, v6, vcc
	v_add_u32_e32 v6, 1, v4
	v_cmp_le_u32_e32 vcc, s0, v5
	v_mov_b32_e32 v11, v3
	s_nop 0
	v_cndmask_b32_e32 v4, v4, v6, vcc
	v_xor_b32_e32 v4, s1, v4
	v_subrev_u32_e32 v12, s1, v4
	v_mul_lo_u32 v4, v12, s19
	v_cmp_gt_i32_e32 vcc, s18, v12
	v_sub_u32_e32 v13, v2, v4
	v_lshlrev_b32_e32 v2, 2, v2
	s_branch .LBB36_6
.LBB36_3:                               ;   in Loop: Header=BB36_6 Depth=1
	s_or_b64 exec, exec, s[46:47]
.LBB36_4:                               ;   in Loop: Header=BB36_6 Depth=1
	s_or_b64 exec, exec, s[44:45]
.LBB36_5:                               ;   in Loop: Header=BB36_6 Depth=1
	s_or_b64 exec, exec, s[42:43]
	v_add_u32_e32 v1, s52, v1
	v_cmp_le_i32_e64 s[0:1], s51, v1
	s_or_b64 s[28:29], s[0:1], s[28:29]
	v_add_u32_e32 v10, s52, v10
	s_andn2_b64 exec, exec, s[28:29]
	s_cbranch_execz .LBB36_22
.LBB36_6:                               ; =>This Loop Header: Depth=1
                                        ;     Child Loop BB36_8 Depth 2
                                        ;     Child Loop BB36_14 Depth 2
                                        ;       Child Loop BB36_20 Depth 3
	v_cmp_le_i32_e64 s[0:1], s17, v10
	s_and_saveexec_b64 s[2:3], s[0:1]
	s_cbranch_execz .LBB36_10
; %bb.7:                                ;   in Loop: Header=BB36_6 Depth=1
	s_mov_b64 s[4:5], 0
.LBB36_8:                               ;   Parent Loop BB36_6 Depth=1
                                        ; =>  This Inner Loop Header: Depth=2
	v_subrev_u32_e32 v10, s17, v10
	v_cmp_gt_i32_e64 s[0:1], s17, v10
	s_or_b64 s[4:5], s[0:1], s[4:5]
	v_add_u32_e32 v9, 1, v9
	s_andn2_b64 exec, exec, s[4:5]
	s_cbranch_execnz .LBB36_8
; %bb.9:                                ;   in Loop: Header=BB36_6 Depth=1
	s_or_b64 exec, exec, s[4:5]
.LBB36_10:                              ;   in Loop: Header=BB36_6 Depth=1
	s_or_b64 exec, exec, s[2:3]
	v_mul_lo_u32 v4, v10, s11
	v_add_u32_e32 v4, s23, v4
	v_cmp_lt_i32_e64 s[0:1], -1, v4
	v_cmp_gt_i32_e64 s[2:3], s13, v4
	s_and_b64 s[0:1], s[0:1], s[2:3]
	s_and_saveexec_b64 s[42:43], s[0:1]
	s_cbranch_execz .LBB36_5
; %bb.11:                               ;   in Loop: Header=BB36_6 Depth=1
	s_and_saveexec_b64 s[44:45], vcc
	s_cbranch_execz .LBB36_4
; %bb.12:                               ;   in Loop: Header=BB36_6 Depth=1
	v_mul_lo_u32 v6, s24, v9
	v_ashrrev_i32_e32 v7, 31, v6
	v_mul_lo_u32 v4, s26, v4
	v_lshl_add_u64 v[6:7], v[6:7], 2, s[40:41]
	v_ashrrev_i32_e32 v5, 31, v4
	v_lshl_add_u64 v[4:5], v[4:5], 2, v[6:7]
	v_mul_lo_u32 v6, s20, v9
	v_ashrrev_i32_e32 v7, 31, v6
	v_mul_lo_u32 v14, s22, v10
	v_lshl_add_u64 v[6:7], v[6:7], 2, s[38:39]
	v_ashrrev_i32_e32 v15, 31, v14
	v_lshl_add_u64 v[6:7], v[14:15], 2, v[6:7]
	v_lshl_add_u64 v[6:7], v[6:7], 0, v[2:3]
	s_mov_b64 s[46:47], 0
	v_mov_b32_e32 v14, v13
	v_mov_b32_e32 v15, v12
	s_branch .LBB36_14
.LBB36_13:                              ;   in Loop: Header=BB36_14 Depth=2
	s_or_b64 exec, exec, s[2:3]
	v_cmp_le_i32_e64 s[0:1], s18, v15
	v_lshl_add_u64 v[6:7], v[6:7], 0, s[30:31]
	s_or_b64 s[46:47], s[0:1], s[46:47]
	s_waitcnt vmcnt(0)
	v_fmac_f32_e32 v11, v16, v17
	s_andn2_b64 exec, exec, s[46:47]
	s_cbranch_execz .LBB36_3
.LBB36_14:                              ;   Parent Loop BB36_6 Depth=1
                                        ; =>  This Loop Header: Depth=2
                                        ;       Child Loop BB36_20 Depth 3
	global_load_dword v16, v[6:7], off
	v_lshl_add_u32 v8, v14, 1, s21
	v_cmp_lt_i32_e64 s[0:1], -1, v8
	v_mov_b32_e32 v17, 0
	s_and_saveexec_b64 s[48:49], s[0:1]
	s_cbranch_execz .LBB36_18
; %bb.15:                               ;   in Loop: Header=BB36_14 Depth=2
	v_lshl_add_u32 v18, v15, 1, s25
	v_cmp_gt_i32_e64 s[0:1], s15, v8
	v_cmp_gt_i32_e64 s[4:5], s14, v18
	v_cmp_lt_i32_e64 s[2:3], -1, v18
	s_and_b64 s[0:1], s[0:1], s[4:5]
	s_and_b64 s[2:3], s[0:1], s[2:3]
	v_mov_b32_e32 v17, 0
	s_and_saveexec_b64 s[0:1], s[2:3]
	s_cbranch_execz .LBB36_17
; %bb.16:                               ;   in Loop: Header=BB36_14 Depth=2
	v_mad_u64_u32 v[18:19], s[2:3], v18, s15, v[8:9]
	v_mov_b32_e32 v19, v3
	v_lshl_add_u64 v[18:19], v[18:19], 2, v[4:5]
	global_load_dword v17, v[18:19], off
.LBB36_17:                              ;   in Loop: Header=BB36_14 Depth=2
	s_or_b64 exec, exec, s[0:1]
.LBB36_18:                              ;   in Loop: Header=BB36_14 Depth=2
	s_or_b64 exec, exec, s[48:49]
	v_add_u32_e32 v14, 64, v14
	v_cmp_le_i32_e64 s[0:1], s19, v14
	s_and_saveexec_b64 s[2:3], s[0:1]
	s_cbranch_execz .LBB36_13
; %bb.19:                               ;   in Loop: Header=BB36_14 Depth=2
	s_mov_b64 s[4:5], 0
.LBB36_20:                              ;   Parent Loop BB36_6 Depth=1
                                        ;     Parent Loop BB36_14 Depth=2
                                        ; =>    This Inner Loop Header: Depth=3
	v_subrev_u32_e32 v14, s19, v14
	v_cmp_gt_i32_e64 s[0:1], s19, v14
	s_or_b64 s[4:5], s[0:1], s[4:5]
	v_add_u32_e32 v15, 1, v15
	s_andn2_b64 exec, exec, s[4:5]
	s_cbranch_execnz .LBB36_20
; %bb.21:                               ;   in Loop: Header=BB36_14 Depth=2
	s_or_b64 exec, exec, s[4:5]
	s_branch .LBB36_13
.LBB36_22:
	s_or_b64 exec, exec, s[28:29]
.LBB36_23:
	s_or_b64 exec, exec, s[36:37]
	s_bcnt1_i32_b32 s0, s50
	v_lshl_add_u32 v1, v0, 2, 0
	s_cmp_lg_u32 s0, 1
	s_mov_b64 s[0:1], -1
	ds_write_b32 v1, v11
	s_waitcnt lgkmcnt(0)
	s_barrier
	s_cbranch_scc1 .LBB36_32
; %bb.24:
	s_andn2_b64 vcc, exec, s[0:1]
	s_cbranch_vccnz .LBB36_28
.LBB36_25:
	s_cmp_lt_u32 s50, 2
	s_cbranch_scc0 .LBB36_30
.LBB36_26:
	v_cmp_eq_u32_e32 vcc, 0, v0
	s_and_saveexec_b64 s[0:1], vcc
	s_cbranch_execz .LBB36_28
; %bb.27:
	s_mul_i32 s0, s7, s33
	s_ashr_i32 s1, s0, 31
	s_lshl_b64 s[0:1], s[0:1], 2
	s_add_u32 s2, s34, s0
	s_mul_i32 s0, s8, s16
	s_addc_u32 s3, s35, s1
	s_ashr_i32 s1, s0, 31
	s_lshl_b64 s[0:1], s[0:1], 2
	s_add_u32 s2, s2, s0
	s_mul_i32 s0, s9, s12
	s_addc_u32 s3, s3, s1
	s_ashr_i32 s1, s0, 31
	s_lshl_b64 s[0:1], s[0:1], 2
	v_mov_b32_e32 v0, 0
	s_add_u32 s2, s2, s0
	s_mul_i32 s0, s10, s6
	ds_read_b32 v1, v0
	s_addc_u32 s3, s3, s1
	s_ashr_i32 s1, s0, 31
	s_lshl_b64 s[0:1], s[0:1], 2
	s_add_u32 s0, s2, s0
	s_addc_u32 s1, s3, s1
	s_waitcnt lgkmcnt(0)
	global_store_dword v0, v1, s[0:1]
.LBB36_28:
	s_endpgm
.LBB36_29:                              ;   in Loop: Header=BB36_30 Depth=1
	s_or_b64 exec, exec, s[0:1]
	s_cmp_lt_u32 s50, 4
	s_mov_b32 s50, s2
	s_waitcnt lgkmcnt(0)
	s_barrier
	s_cbranch_scc1 .LBB36_26
.LBB36_30:                              ; =>This Inner Loop Header: Depth=1
	s_lshr_b32 s2, s50, 1
	v_cmp_gt_u32_e32 vcc, s2, v0
	s_and_saveexec_b64 s[0:1], vcc
	s_cbranch_execz .LBB36_29
; %bb.31:                               ;   in Loop: Header=BB36_30 Depth=1
	v_lshl_add_u32 v2, s2, 2, v1
	ds_read_b32 v2, v2
	ds_read_b32 v3, v1
	s_waitcnt lgkmcnt(0)
	v_add_f32_e32 v2, v2, v3
	ds_write_b32 v1, v2
	s_branch .LBB36_29
.LBB36_32:
	s_trap 2
	; divergent unreachable
	s_cbranch_execz .LBB36_25
	s_branch .LBB36_28
	.section	.rodata,"a",@progbits
	.p2align	6, 0x0
	.amdhsa_kernel _ZN2at6native12_GLOBAL__N_144conv_depthwise3d_cuda_backward_weight_kernelIffLi2ELi2EEEvN5torch10headeronly6detail27GenericPackedTensorAccessorINS5_14TensorAccessorIN3c108ArrayRefIlEEKT_Lm4ENS4_16DefaultPtrTraitsEiEENS_6detail16IndexBoundsCheckILm5EiEESC_Lm5ESD_iEESI_NS6_INS7_ISA_SB_Lm4ESD_iEESH_SB_Lm5ESD_iEEiiiiiiiii
		.amdhsa_group_segment_fixed_size 0
		.amdhsa_private_segment_fixed_size 0
		.amdhsa_kernarg_size 440
		.amdhsa_user_sgpr_count 2
		.amdhsa_user_sgpr_dispatch_ptr 0
		.amdhsa_user_sgpr_queue_ptr 0
		.amdhsa_user_sgpr_kernarg_segment_ptr 1
		.amdhsa_user_sgpr_dispatch_id 0
		.amdhsa_user_sgpr_kernarg_preload_length 0
		.amdhsa_user_sgpr_kernarg_preload_offset 0
		.amdhsa_user_sgpr_private_segment_size 0
		.amdhsa_uses_dynamic_stack 0
		.amdhsa_enable_private_segment 0
		.amdhsa_system_sgpr_workgroup_id_x 1
		.amdhsa_system_sgpr_workgroup_id_y 0
		.amdhsa_system_sgpr_workgroup_id_z 0
		.amdhsa_system_sgpr_workgroup_info 0
		.amdhsa_system_vgpr_workitem_id 0
		.amdhsa_next_free_vgpr 20
		.amdhsa_next_free_sgpr 53
		.amdhsa_accum_offset 20
		.amdhsa_reserve_vcc 1
		.amdhsa_float_round_mode_32 0
		.amdhsa_float_round_mode_16_64 0
		.amdhsa_float_denorm_mode_32 3
		.amdhsa_float_denorm_mode_16_64 3
		.amdhsa_dx10_clamp 1
		.amdhsa_ieee_mode 1
		.amdhsa_fp16_overflow 0
		.amdhsa_tg_split 0
		.amdhsa_exception_fp_ieee_invalid_op 0
		.amdhsa_exception_fp_denorm_src 0
		.amdhsa_exception_fp_ieee_div_zero 0
		.amdhsa_exception_fp_ieee_overflow 0
		.amdhsa_exception_fp_ieee_underflow 0
		.amdhsa_exception_fp_ieee_inexact 0
		.amdhsa_exception_int_div_zero 0
	.end_amdhsa_kernel
	.section	.text._ZN2at6native12_GLOBAL__N_144conv_depthwise3d_cuda_backward_weight_kernelIffLi2ELi2EEEvN5torch10headeronly6detail27GenericPackedTensorAccessorINS5_14TensorAccessorIN3c108ArrayRefIlEEKT_Lm4ENS4_16DefaultPtrTraitsEiEENS_6detail16IndexBoundsCheckILm5EiEESC_Lm5ESD_iEESI_NS6_INS7_ISA_SB_Lm4ESD_iEESH_SB_Lm5ESD_iEEiiiiiiiii,"axG",@progbits,_ZN2at6native12_GLOBAL__N_144conv_depthwise3d_cuda_backward_weight_kernelIffLi2ELi2EEEvN5torch10headeronly6detail27GenericPackedTensorAccessorINS5_14TensorAccessorIN3c108ArrayRefIlEEKT_Lm4ENS4_16DefaultPtrTraitsEiEENS_6detail16IndexBoundsCheckILm5EiEESC_Lm5ESD_iEESI_NS6_INS7_ISA_SB_Lm4ESD_iEESH_SB_Lm5ESD_iEEiiiiiiiii,comdat
.Lfunc_end36:
	.size	_ZN2at6native12_GLOBAL__N_144conv_depthwise3d_cuda_backward_weight_kernelIffLi2ELi2EEEvN5torch10headeronly6detail27GenericPackedTensorAccessorINS5_14TensorAccessorIN3c108ArrayRefIlEEKT_Lm4ENS4_16DefaultPtrTraitsEiEENS_6detail16IndexBoundsCheckILm5EiEESC_Lm5ESD_iEESI_NS6_INS7_ISA_SB_Lm4ESD_iEESH_SB_Lm5ESD_iEEiiiiiiiii, .Lfunc_end36-_ZN2at6native12_GLOBAL__N_144conv_depthwise3d_cuda_backward_weight_kernelIffLi2ELi2EEEvN5torch10headeronly6detail27GenericPackedTensorAccessorINS5_14TensorAccessorIN3c108ArrayRefIlEEKT_Lm4ENS4_16DefaultPtrTraitsEiEENS_6detail16IndexBoundsCheckILm5EiEESC_Lm5ESD_iEESI_NS6_INS7_ISA_SB_Lm4ESD_iEESH_SB_Lm5ESD_iEEiiiiiiiii
                                        ; -- End function
	.set _ZN2at6native12_GLOBAL__N_144conv_depthwise3d_cuda_backward_weight_kernelIffLi2ELi2EEEvN5torch10headeronly6detail27GenericPackedTensorAccessorINS5_14TensorAccessorIN3c108ArrayRefIlEEKT_Lm4ENS4_16DefaultPtrTraitsEiEENS_6detail16IndexBoundsCheckILm5EiEESC_Lm5ESD_iEESI_NS6_INS7_ISA_SB_Lm4ESD_iEESH_SB_Lm5ESD_iEEiiiiiiiii.num_vgpr, 20
	.set _ZN2at6native12_GLOBAL__N_144conv_depthwise3d_cuda_backward_weight_kernelIffLi2ELi2EEEvN5torch10headeronly6detail27GenericPackedTensorAccessorINS5_14TensorAccessorIN3c108ArrayRefIlEEKT_Lm4ENS4_16DefaultPtrTraitsEiEENS_6detail16IndexBoundsCheckILm5EiEESC_Lm5ESD_iEESI_NS6_INS7_ISA_SB_Lm4ESD_iEESH_SB_Lm5ESD_iEEiiiiiiiii.num_agpr, 0
	.set _ZN2at6native12_GLOBAL__N_144conv_depthwise3d_cuda_backward_weight_kernelIffLi2ELi2EEEvN5torch10headeronly6detail27GenericPackedTensorAccessorINS5_14TensorAccessorIN3c108ArrayRefIlEEKT_Lm4ENS4_16DefaultPtrTraitsEiEENS_6detail16IndexBoundsCheckILm5EiEESC_Lm5ESD_iEESI_NS6_INS7_ISA_SB_Lm4ESD_iEESH_SB_Lm5ESD_iEEiiiiiiiii.numbered_sgpr, 53
	.set _ZN2at6native12_GLOBAL__N_144conv_depthwise3d_cuda_backward_weight_kernelIffLi2ELi2EEEvN5torch10headeronly6detail27GenericPackedTensorAccessorINS5_14TensorAccessorIN3c108ArrayRefIlEEKT_Lm4ENS4_16DefaultPtrTraitsEiEENS_6detail16IndexBoundsCheckILm5EiEESC_Lm5ESD_iEESI_NS6_INS7_ISA_SB_Lm4ESD_iEESH_SB_Lm5ESD_iEEiiiiiiiii.num_named_barrier, 0
	.set _ZN2at6native12_GLOBAL__N_144conv_depthwise3d_cuda_backward_weight_kernelIffLi2ELi2EEEvN5torch10headeronly6detail27GenericPackedTensorAccessorINS5_14TensorAccessorIN3c108ArrayRefIlEEKT_Lm4ENS4_16DefaultPtrTraitsEiEENS_6detail16IndexBoundsCheckILm5EiEESC_Lm5ESD_iEESI_NS6_INS7_ISA_SB_Lm4ESD_iEESH_SB_Lm5ESD_iEEiiiiiiiii.private_seg_size, 0
	.set _ZN2at6native12_GLOBAL__N_144conv_depthwise3d_cuda_backward_weight_kernelIffLi2ELi2EEEvN5torch10headeronly6detail27GenericPackedTensorAccessorINS5_14TensorAccessorIN3c108ArrayRefIlEEKT_Lm4ENS4_16DefaultPtrTraitsEiEENS_6detail16IndexBoundsCheckILm5EiEESC_Lm5ESD_iEESI_NS6_INS7_ISA_SB_Lm4ESD_iEESH_SB_Lm5ESD_iEEiiiiiiiii.uses_vcc, 1
	.set _ZN2at6native12_GLOBAL__N_144conv_depthwise3d_cuda_backward_weight_kernelIffLi2ELi2EEEvN5torch10headeronly6detail27GenericPackedTensorAccessorINS5_14TensorAccessorIN3c108ArrayRefIlEEKT_Lm4ENS4_16DefaultPtrTraitsEiEENS_6detail16IndexBoundsCheckILm5EiEESC_Lm5ESD_iEESI_NS6_INS7_ISA_SB_Lm4ESD_iEESH_SB_Lm5ESD_iEEiiiiiiiii.uses_flat_scratch, 0
	.set _ZN2at6native12_GLOBAL__N_144conv_depthwise3d_cuda_backward_weight_kernelIffLi2ELi2EEEvN5torch10headeronly6detail27GenericPackedTensorAccessorINS5_14TensorAccessorIN3c108ArrayRefIlEEKT_Lm4ENS4_16DefaultPtrTraitsEiEENS_6detail16IndexBoundsCheckILm5EiEESC_Lm5ESD_iEESI_NS6_INS7_ISA_SB_Lm4ESD_iEESH_SB_Lm5ESD_iEEiiiiiiiii.has_dyn_sized_stack, 0
	.set _ZN2at6native12_GLOBAL__N_144conv_depthwise3d_cuda_backward_weight_kernelIffLi2ELi2EEEvN5torch10headeronly6detail27GenericPackedTensorAccessorINS5_14TensorAccessorIN3c108ArrayRefIlEEKT_Lm4ENS4_16DefaultPtrTraitsEiEENS_6detail16IndexBoundsCheckILm5EiEESC_Lm5ESD_iEESI_NS6_INS7_ISA_SB_Lm4ESD_iEESH_SB_Lm5ESD_iEEiiiiiiiii.has_recursion, 0
	.set _ZN2at6native12_GLOBAL__N_144conv_depthwise3d_cuda_backward_weight_kernelIffLi2ELi2EEEvN5torch10headeronly6detail27GenericPackedTensorAccessorINS5_14TensorAccessorIN3c108ArrayRefIlEEKT_Lm4ENS4_16DefaultPtrTraitsEiEENS_6detail16IndexBoundsCheckILm5EiEESC_Lm5ESD_iEESI_NS6_INS7_ISA_SB_Lm4ESD_iEESH_SB_Lm5ESD_iEEiiiiiiiii.has_indirect_call, 0
	.section	.AMDGPU.csdata,"",@progbits
; Kernel info:
; codeLenInByte = 1796
; TotalNumSgprs: 59
; NumVgprs: 20
; NumAgprs: 0
; TotalNumVgprs: 20
; ScratchSize: 0
; MemoryBound: 0
; FloatMode: 240
; IeeeMode: 1
; LDSByteSize: 0 bytes/workgroup (compile time only)
; SGPRBlocks: 7
; VGPRBlocks: 2
; NumSGPRsForWavesPerEU: 59
; NumVGPRsForWavesPerEU: 20
; AccumOffset: 20
; Occupancy: 8
; WaveLimiterHint : 1
; COMPUTE_PGM_RSRC2:SCRATCH_EN: 0
; COMPUTE_PGM_RSRC2:USER_SGPR: 2
; COMPUTE_PGM_RSRC2:TRAP_HANDLER: 0
; COMPUTE_PGM_RSRC2:TGID_X_EN: 1
; COMPUTE_PGM_RSRC2:TGID_Y_EN: 0
; COMPUTE_PGM_RSRC2:TGID_Z_EN: 0
; COMPUTE_PGM_RSRC2:TIDIG_COMP_CNT: 0
; COMPUTE_PGM_RSRC3_GFX90A:ACCUM_OFFSET: 4
; COMPUTE_PGM_RSRC3_GFX90A:TG_SPLIT: 0
	.section	.text._ZN2at6native12_GLOBAL__N_144conv_depthwise3d_cuda_backward_weight_kernelIffLin1ELin1EEEvN5torch10headeronly6detail27GenericPackedTensorAccessorINS5_14TensorAccessorIN3c108ArrayRefIlEEKT_Lm4ENS4_16DefaultPtrTraitsEiEENS_6detail16IndexBoundsCheckILm5EiEESC_Lm5ESD_iEESI_NS6_INS7_ISA_SB_Lm4ESD_iEESH_SB_Lm5ESD_iEEiiiiiiiii,"axG",@progbits,_ZN2at6native12_GLOBAL__N_144conv_depthwise3d_cuda_backward_weight_kernelIffLin1ELin1EEEvN5torch10headeronly6detail27GenericPackedTensorAccessorINS5_14TensorAccessorIN3c108ArrayRefIlEEKT_Lm4ENS4_16DefaultPtrTraitsEiEENS_6detail16IndexBoundsCheckILm5EiEESC_Lm5ESD_iEESI_NS6_INS7_ISA_SB_Lm4ESD_iEESH_SB_Lm5ESD_iEEiiiiiiiii,comdat
	.globl	_ZN2at6native12_GLOBAL__N_144conv_depthwise3d_cuda_backward_weight_kernelIffLin1ELin1EEEvN5torch10headeronly6detail27GenericPackedTensorAccessorINS5_14TensorAccessorIN3c108ArrayRefIlEEKT_Lm4ENS4_16DefaultPtrTraitsEiEENS_6detail16IndexBoundsCheckILm5EiEESC_Lm5ESD_iEESI_NS6_INS7_ISA_SB_Lm4ESD_iEESH_SB_Lm5ESD_iEEiiiiiiiii ; -- Begin function _ZN2at6native12_GLOBAL__N_144conv_depthwise3d_cuda_backward_weight_kernelIffLin1ELin1EEEvN5torch10headeronly6detail27GenericPackedTensorAccessorINS5_14TensorAccessorIN3c108ArrayRefIlEEKT_Lm4ENS4_16DefaultPtrTraitsEiEENS_6detail16IndexBoundsCheckILm5EiEESC_Lm5ESD_iEESI_NS6_INS7_ISA_SB_Lm4ESD_iEESH_SB_Lm5ESD_iEEiiiiiiiii
	.p2align	8
	.type	_ZN2at6native12_GLOBAL__N_144conv_depthwise3d_cuda_backward_weight_kernelIffLin1ELin1EEEvN5torch10headeronly6detail27GenericPackedTensorAccessorINS5_14TensorAccessorIN3c108ArrayRefIlEEKT_Lm4ENS4_16DefaultPtrTraitsEiEENS_6detail16IndexBoundsCheckILm5EiEESC_Lm5ESD_iEESI_NS6_INS7_ISA_SB_Lm4ESD_iEESH_SB_Lm5ESD_iEEiiiiiiiii,@function
_ZN2at6native12_GLOBAL__N_144conv_depthwise3d_cuda_backward_weight_kernelIffLin1ELin1EEEvN5torch10headeronly6detail27GenericPackedTensorAccessorINS5_14TensorAccessorIN3c108ArrayRefIlEEKT_Lm4ENS4_16DefaultPtrTraitsEiEENS_6detail16IndexBoundsCheckILm5EiEESC_Lm5ESD_iEESI_NS6_INS7_ISA_SB_Lm4ESD_iEESH_SB_Lm5ESD_iEEiiiiiiiii: ; @_ZN2at6native12_GLOBAL__N_144conv_depthwise3d_cuda_backward_weight_kernelIffLin1ELin1EEEvN5torch10headeronly6detail27GenericPackedTensorAccessorINS5_14TensorAccessorIN3c108ArrayRefIlEEKT_Lm4ENS4_16DefaultPtrTraitsEiEENS_6detail16IndexBoundsCheckILm5EiEESC_Lm5ESD_iEESI_NS6_INS7_ISA_SB_Lm4ESD_iEESH_SB_Lm5ESD_iEEiiiiiiiii
; %bb.0:
	s_load_dwordx4 s[4:7], s[0:1], 0x70
	s_add_u32 s24, s0, 0x60
	s_addc_u32 s25, s1, 0
	s_load_dwordx4 s[16:19], s[0:1], 0x3c
	s_load_dwordx4 s[20:23], s[0:1], 0xc
	s_waitcnt lgkmcnt(0)
	v_cvt_f32_u32_e32 v1, s6
	v_cvt_f32_u32_e32 v2, s5
	s_sub_i32 s3, 0, s6
	v_rcp_iflag_f32_e32 v1, v1
	v_rcp_iflag_f32_e32 v2, v2
	v_mul_f32_e32 v1, 0x4f7ffffe, v1
	v_cvt_u32_f32_e32 v1, v1
	v_mul_f32_e32 v2, 0x4f7ffffe, v2
	v_cvt_u32_f32_e32 v2, v2
	v_readfirstlane_b32 s8, v1
	s_mul_i32 s3, s3, s8
	s_mul_hi_u32 s3, s8, s3
	s_add_i32 s8, s8, s3
	s_mul_hi_u32 s3, s2, s8
	s_mul_i32 s8, s3, s6
	s_sub_i32 s8, s2, s8
	s_add_i32 s10, s3, 1
	s_sub_i32 s11, s8, s6
	s_cmp_ge_u32 s8, s6
	s_cselect_b32 s3, s10, s3
	s_cselect_b32 s8, s11, s8
	s_add_i32 s10, s3, 1
	s_cmp_ge_u32 s8, s6
	v_cvt_f32_u32_e32 v1, s4
	v_readfirstlane_b32 s9, v2
	s_cselect_b32 s3, s10, s3
	s_sub_i32 s8, 0, s5
	s_mul_i32 s8, s8, s9
	s_mul_hi_u32 s8, s9, s8
	s_add_i32 s9, s9, s8
	v_rcp_iflag_f32_e32 v1, v1
	s_mul_hi_u32 s8, s3, s9
	s_mul_i32 s9, s8, s5
	s_sub_i32 s9, s3, s9
	s_add_i32 s10, s8, 1
	s_sub_i32 s11, s9, s5
	v_mul_f32_e32 v1, 0x4f7ffffe, v1
	s_cmp_ge_u32 s9, s5
	v_cvt_u32_f32_e32 v1, v1
	s_cselect_b32 s8, s10, s8
	s_cselect_b32 s9, s11, s9
	s_add_i32 s10, s8, 1
	s_cmp_ge_u32 s9, s5
	s_cselect_b32 s26, s10, s8
	s_sub_i32 s8, 0, s4
	v_readfirstlane_b32 s9, v1
	s_mul_i32 s8, s8, s9
	s_mul_hi_u32 s8, s9, s8
	s_add_i32 s9, s9, s8
	s_mul_hi_u32 s8, s26, s9
	s_mul_i32 s9, s8, s4
	s_sub_i32 s9, s26, s9
	s_add_i32 s10, s8, 1
	s_sub_i32 s11, s9, s4
	s_cmp_ge_u32 s9, s4
	s_cselect_b32 s8, s10, s8
	s_cselect_b32 s9, s11, s9
	s_add_i32 s10, s8, 1
	s_cmp_ge_u32 s9, s4
	s_cselect_b32 s33, s10, s8
	s_abs_i32 s8, s16
	v_cvt_f32_u32_e32 v1, s8
	s_sub_i32 s11, 0, s8
	s_abs_i32 s10, s20
	s_xor_b32 s9, s20, s16
	v_rcp_iflag_f32_e32 v1, v1
	s_ashr_i32 s9, s9, 31
	v_mul_f32_e32 v1, 0x4f7ffffe, v1
	v_cvt_u32_f32_e32 v1, v1
	s_nop 0
	v_readfirstlane_b32 s12, v1
	s_mul_i32 s11, s11, s12
	s_mul_hi_u32 s11, s12, s11
	s_add_i32 s12, s12, s11
	s_mul_hi_u32 s11, s10, s12
	s_mul_i32 s12, s11, s8
	s_sub_i32 s10, s10, s12
	s_add_i32 s12, s11, 1
	s_sub_i32 s13, s10, s8
	s_cmp_ge_u32 s10, s8
	s_cselect_b32 s11, s12, s11
	s_cselect_b32 s10, s13, s10
	s_add_i32 s12, s11, 1
	s_cmp_ge_u32 s10, s8
	s_cselect_b32 s8, s12, s11
	s_xor_b32 s8, s8, s9
	s_sub_i32 s28, s8, s9
	s_abs_i32 s27, s28
	v_cvt_f32_u32_e32 v1, s27
	s_load_dword s8, s[0:1], 0x68
	v_rcp_iflag_f32_e32 v1, v1
	s_waitcnt lgkmcnt(0)
	s_cmp_ge_i32 s33, s8
	v_mul_f32_e32 v1, 0x4f7ffffe, v1
	v_cvt_u32_f32_e32 v1, v1
	s_nop 0
	v_readfirstlane_b32 s29, v1
	s_cbranch_scc1 .LBB37_28
; %bb.1:
	s_mul_i32 s6, s3, s6
	s_sub_i32 s6, s2, s6
	s_mul_i32 s2, s26, s5
	s_load_dwordx2 s[34:35], s[24:25], 0x0
	s_load_dwordx8 s[8:15], s[24:25], 0x24
	s_sub_i32 s16, s3, s2
	s_load_dwordx4 s[36:39], s[24:25], 0x44
	s_load_dword s2, s[0:1], 0xc4
	s_load_dword s53, s[0:1], 0x38
	s_mul_i32 s3, s33, s4
	v_lshrrev_b32_e32 v1, 6, v0
	s_sub_i32 s20, s26, s3
	s_waitcnt lgkmcnt(0)
	s_and_b32 s52, s2, 0xffff
	s_mul_i32 s53, s53, s21
	v_cmp_gt_i32_e32 vcc, s53, v1
	v_mov_b32_e32 v11, 0
	s_and_saveexec_b64 s[40:41], vcc
	s_cbranch_execz .LBB37_23
; %bb.2:
	s_sub_i32 s5, 0, s27
	s_mul_i32 s5, s5, s29
	s_mul_hi_u32 s5, s29, s5
	s_abs_i32 s4, s33
	s_add_i32 s29, s29, s5
	s_ashr_i32 s2, s33, 31
	s_ashr_i32 s3, s28, 31
	s_mul_hi_u32 s5, s4, s29
	s_xor_b32 s2, s2, s3
	s_mul_i32 s3, s5, s27
	s_sub_i32 s3, s4, s3
	s_lshr_b32 s54, s52, 6
	s_add_i32 s4, s5, 1
	s_sub_i32 s24, s3, s27
	s_cmp_ge_u32 s3, s27
	s_cselect_b32 s4, s4, s5
	s_cselect_b32 s3, s24, s3
	s_add_i32 s5, s4, 1
	s_cmp_ge_u32 s3, s27
	s_cselect_b32 s3, s5, s4
	s_abs_i32 s4, s21
	v_cvt_f32_u32_e32 v2, s4
	s_xor_b32 s3, s3, s2
	s_sub_i32 s46, s3, s2
	s_sub_i32 s2, 0, s4
	v_rcp_iflag_f32_e32 v3, v2
	s_ashr_i32 s5, s21, 31
	v_and_b32_e32 v2, 63, v0
	v_mul_f32_e32 v3, 0x4f7ffffe, v3
	v_cvt_u32_f32_e32 v3, v3
	v_mul_lo_u32 v4, s2, v3
	v_mul_hi_u32 v4, v3, v4
	v_add_u32_e32 v3, v3, v4
	v_mul_hi_u32 v3, v1, v3
	v_mul_lo_u32 v4, v3, s4
	v_sub_u32_e32 v4, v1, v4
	v_add_u32_e32 v5, 1, v3
	v_cmp_le_u32_e32 vcc, s4, v4
	s_load_dwordx2 s[2:3], s[0:1], 0x0
	s_load_dwordx4 s[24:27], s[0:1], 0x1c
	v_cndmask_b32_e32 v3, v3, v5, vcc
	v_subrev_u32_e32 v5, s4, v4
	v_cndmask_b32_e32 v4, v4, v5, vcc
	v_add_u32_e32 v5, 1, v3
	v_cmp_le_u32_e32 vcc, s4, v4
	s_load_dwordx2 s[44:45], s[0:1], 0x30
	s_load_dwordx4 s[28:31], s[0:1], 0x4c
	v_cndmask_b32_e32 v3, v3, v5, vcc
	s_mul_i32 s4, s20, s37
	v_xor_b32_e32 v3, s5, v3
	s_waitcnt lgkmcnt(0)
	s_sub_i32 s27, s4, s14
	s_mul_i32 s4, s25, s33
	v_subrev_u32_e32 v9, s5, v3
	s_ashr_i32 s5, s4, 31
	s_lshl_b64 s[0:1], s[4:5], 2
	s_add_u32 s42, s2, s0
	s_mul_i32 s0, s29, s46
	s_addc_u32 s43, s3, s1
	s_ashr_i32 s1, s0, 31
	s_lshl_b64 s[0:1], s[0:1], 2
	s_add_u32 s44, s44, s0
	s_addc_u32 s45, s45, s1
	s_abs_i32 s0, s23
	v_cvt_f32_u32_e32 v4, s0
	s_sub_i32 s2, 0, s0
	s_mul_i32 s1, s6, s39
	s_sub_i32 s25, s1, s36
	v_rcp_iflag_f32_e32 v4, v4
	s_mul_i32 s1, s16, s38
	s_sub_i32 s29, s1, s15
	s_ashr_i32 s1, s23, 31
	v_mul_f32_e32 v4, 0x4f7ffffe, v4
	v_cvt_u32_f32_e32 v4, v4
	v_mul_lo_u32 v3, v9, s21
	v_sub_u32_e32 v10, v1, v3
	v_mov_b32_e32 v3, 0
	v_mul_lo_u32 v5, s2, v4
	v_mul_hi_u32 v5, v4, v5
	v_add_u32_e32 v4, v4, v5
	v_mul_hi_u32 v4, v2, v4
	v_mul_lo_u32 v5, v4, s0
	v_sub_u32_e32 v5, v2, v5
	v_add_u32_e32 v6, 1, v4
	v_cmp_le_u32_e32 vcc, s0, v5
	s_mov_b64 s[14:15], 0
	s_mov_b64 s[36:37], 0x100
	v_cndmask_b32_e32 v4, v4, v6, vcc
	v_subrev_u32_e32 v6, s0, v5
	v_cndmask_b32_e32 v5, v5, v6, vcc
	v_add_u32_e32 v6, 1, v4
	v_cmp_le_u32_e32 vcc, s0, v5
	v_mov_b32_e32 v11, v3
	s_nop 0
	v_cndmask_b32_e32 v4, v4, v6, vcc
	v_xor_b32_e32 v4, s1, v4
	v_subrev_u32_e32 v12, s1, v4
	v_mul_lo_u32 v4, v12, s23
	v_cmp_gt_i32_e32 vcc, s22, v12
	v_sub_u32_e32 v13, v2, v4
	v_lshlrev_b32_e32 v2, 2, v2
	s_branch .LBB37_6
.LBB37_3:                               ;   in Loop: Header=BB37_6 Depth=1
	s_or_b64 exec, exec, s[48:49]
.LBB37_4:                               ;   in Loop: Header=BB37_6 Depth=1
	s_or_b64 exec, exec, s[46:47]
.LBB37_5:                               ;   in Loop: Header=BB37_6 Depth=1
	s_or_b64 exec, exec, s[38:39]
	v_add_u32_e32 v1, s54, v1
	v_cmp_le_i32_e64 s[0:1], s53, v1
	s_or_b64 s[14:15], s[0:1], s[14:15]
	v_add_u32_e32 v10, s54, v10
	s_andn2_b64 exec, exec, s[14:15]
	s_cbranch_execz .LBB37_22
.LBB37_6:                               ; =>This Loop Header: Depth=1
                                        ;     Child Loop BB37_8 Depth 2
                                        ;     Child Loop BB37_14 Depth 2
                                        ;       Child Loop BB37_20 Depth 3
	v_cmp_le_i32_e64 s[0:1], s21, v10
	s_and_saveexec_b64 s[2:3], s[0:1]
	s_cbranch_execz .LBB37_10
; %bb.7:                                ;   in Loop: Header=BB37_6 Depth=1
	s_mov_b64 s[4:5], 0
.LBB37_8:                               ;   Parent Loop BB37_6 Depth=1
                                        ; =>  This Inner Loop Header: Depth=2
	v_subrev_u32_e32 v10, s21, v10
	v_cmp_gt_i32_e64 s[0:1], s21, v10
	s_or_b64 s[4:5], s[0:1], s[4:5]
	v_add_u32_e32 v9, 1, v9
	s_andn2_b64 exec, exec, s[4:5]
	s_cbranch_execnz .LBB37_8
; %bb.9:                                ;   in Loop: Header=BB37_6 Depth=1
	s_or_b64 exec, exec, s[4:5]
.LBB37_10:                              ;   in Loop: Header=BB37_6 Depth=1
	s_or_b64 exec, exec, s[2:3]
	v_mul_lo_u32 v4, v10, s11
	v_add_u32_e32 v4, s27, v4
	v_cmp_lt_i32_e64 s[0:1], -1, v4
	v_cmp_gt_i32_e64 s[2:3], s17, v4
	s_and_b64 s[0:1], s[0:1], s[2:3]
	s_and_saveexec_b64 s[38:39], s[0:1]
	s_cbranch_execz .LBB37_5
; %bb.11:                               ;   in Loop: Header=BB37_6 Depth=1
	s_and_saveexec_b64 s[46:47], vcc
	s_cbranch_execz .LBB37_4
; %bb.12:                               ;   in Loop: Header=BB37_6 Depth=1
	v_mul_lo_u32 v6, s28, v9
	v_ashrrev_i32_e32 v7, 31, v6
	v_mul_lo_u32 v4, s30, v4
	v_lshl_add_u64 v[6:7], v[6:7], 2, s[44:45]
	v_ashrrev_i32_e32 v5, 31, v4
	v_lshl_add_u64 v[4:5], v[4:5], 2, v[6:7]
	v_mul_lo_u32 v6, s24, v9
	v_ashrrev_i32_e32 v7, 31, v6
	v_mul_lo_u32 v14, s26, v10
	v_lshl_add_u64 v[6:7], v[6:7], 2, s[42:43]
	v_ashrrev_i32_e32 v15, 31, v14
	v_lshl_add_u64 v[6:7], v[14:15], 2, v[6:7]
	v_lshl_add_u64 v[6:7], v[6:7], 0, v[2:3]
	s_mov_b64 s[48:49], 0
	v_mov_b32_e32 v14, v13
	v_mov_b32_e32 v15, v12
	s_branch .LBB37_14
.LBB37_13:                              ;   in Loop: Header=BB37_14 Depth=2
	s_or_b64 exec, exec, s[2:3]
	v_cmp_le_i32_e64 s[0:1], s22, v15
	v_lshl_add_u64 v[6:7], v[6:7], 0, s[36:37]
	s_or_b64 s[48:49], s[0:1], s[48:49]
	s_waitcnt vmcnt(0)
	v_fmac_f32_e32 v11, v16, v17
	s_andn2_b64 exec, exec, s[48:49]
	s_cbranch_execz .LBB37_3
.LBB37_14:                              ;   Parent Loop BB37_6 Depth=1
                                        ; =>  This Loop Header: Depth=2
                                        ;       Child Loop BB37_20 Depth 3
	global_load_dword v16, v[6:7], off
	v_mul_lo_u32 v8, v14, s13
	v_add_u32_e32 v8, s25, v8
	v_cmp_lt_i32_e64 s[0:1], -1, v8
	v_mov_b32_e32 v17, 0
	s_and_saveexec_b64 s[50:51], s[0:1]
	s_cbranch_execz .LBB37_18
; %bb.15:                               ;   in Loop: Header=BB37_14 Depth=2
	v_mul_lo_u32 v17, v15, s12
	v_add_u32_e32 v18, s29, v17
	v_cmp_gt_i32_e64 s[0:1], s19, v8
	v_cmp_gt_i32_e64 s[4:5], s18, v18
	v_cmp_lt_i32_e64 s[2:3], -1, v18
	s_and_b64 s[0:1], s[0:1], s[4:5]
	s_and_b64 s[2:3], s[0:1], s[2:3]
	v_mov_b32_e32 v17, 0
	s_and_saveexec_b64 s[0:1], s[2:3]
	s_cbranch_execz .LBB37_17
; %bb.16:                               ;   in Loop: Header=BB37_14 Depth=2
	v_mad_u64_u32 v[18:19], s[2:3], v18, s19, v[8:9]
	v_mov_b32_e32 v19, v3
	v_lshl_add_u64 v[18:19], v[18:19], 2, v[4:5]
	global_load_dword v17, v[18:19], off
.LBB37_17:                              ;   in Loop: Header=BB37_14 Depth=2
	s_or_b64 exec, exec, s[0:1]
.LBB37_18:                              ;   in Loop: Header=BB37_14 Depth=2
	s_or_b64 exec, exec, s[50:51]
	v_add_u32_e32 v14, 64, v14
	v_cmp_le_i32_e64 s[0:1], s23, v14
	s_and_saveexec_b64 s[2:3], s[0:1]
	s_cbranch_execz .LBB37_13
; %bb.19:                               ;   in Loop: Header=BB37_14 Depth=2
	s_mov_b64 s[4:5], 0
.LBB37_20:                              ;   Parent Loop BB37_6 Depth=1
                                        ;     Parent Loop BB37_14 Depth=2
                                        ; =>    This Inner Loop Header: Depth=3
	v_subrev_u32_e32 v14, s23, v14
	v_cmp_gt_i32_e64 s[0:1], s23, v14
	s_or_b64 s[4:5], s[0:1], s[4:5]
	v_add_u32_e32 v15, 1, v15
	s_andn2_b64 exec, exec, s[4:5]
	s_cbranch_execnz .LBB37_20
; %bb.21:                               ;   in Loop: Header=BB37_14 Depth=2
	s_or_b64 exec, exec, s[4:5]
	s_branch .LBB37_13
.LBB37_22:
	s_or_b64 exec, exec, s[14:15]
.LBB37_23:
	s_or_b64 exec, exec, s[40:41]
	s_bcnt1_i32_b32 s0, s52
	v_lshl_add_u32 v1, v0, 2, 0
	s_cmp_lg_u32 s0, 1
	s_mov_b64 s[0:1], -1
	ds_write_b32 v1, v11
	s_waitcnt lgkmcnt(0)
	s_barrier
	s_cbranch_scc1 .LBB37_32
; %bb.24:
	s_andn2_b64 vcc, exec, s[0:1]
	s_cbranch_vccnz .LBB37_28
.LBB37_25:
	s_cmp_lt_u32 s52, 2
	s_cbranch_scc0 .LBB37_30
.LBB37_26:
	v_cmp_eq_u32_e32 vcc, 0, v0
	s_and_saveexec_b64 s[0:1], vcc
	s_cbranch_execz .LBB37_28
; %bb.27:
	s_mul_i32 s0, s7, s33
	s_ashr_i32 s1, s0, 31
	s_lshl_b64 s[0:1], s[0:1], 2
	s_add_u32 s2, s34, s0
	s_mul_i32 s0, s8, s20
	s_addc_u32 s3, s35, s1
	s_ashr_i32 s1, s0, 31
	s_lshl_b64 s[0:1], s[0:1], 2
	s_add_u32 s2, s2, s0
	s_mul_i32 s0, s9, s16
	s_addc_u32 s3, s3, s1
	s_ashr_i32 s1, s0, 31
	s_lshl_b64 s[0:1], s[0:1], 2
	v_mov_b32_e32 v0, 0
	s_add_u32 s2, s2, s0
	s_mul_i32 s0, s10, s6
	ds_read_b32 v1, v0
	s_addc_u32 s3, s3, s1
	s_ashr_i32 s1, s0, 31
	s_lshl_b64 s[0:1], s[0:1], 2
	s_add_u32 s0, s2, s0
	s_addc_u32 s1, s3, s1
	s_waitcnt lgkmcnt(0)
	global_store_dword v0, v1, s[0:1]
.LBB37_28:
	s_endpgm
.LBB37_29:                              ;   in Loop: Header=BB37_30 Depth=1
	s_or_b64 exec, exec, s[0:1]
	s_cmp_lt_u32 s52, 4
	s_mov_b32 s52, s2
	s_waitcnt lgkmcnt(0)
	s_barrier
	s_cbranch_scc1 .LBB37_26
.LBB37_30:                              ; =>This Inner Loop Header: Depth=1
	s_lshr_b32 s2, s52, 1
	v_cmp_gt_u32_e32 vcc, s2, v0
	s_and_saveexec_b64 s[0:1], vcc
	s_cbranch_execz .LBB37_29
; %bb.31:                               ;   in Loop: Header=BB37_30 Depth=1
	v_lshl_add_u32 v2, s2, 2, v1
	ds_read_b32 v2, v2
	ds_read_b32 v3, v1
	s_waitcnt lgkmcnt(0)
	v_add_f32_e32 v2, v2, v3
	ds_write_b32 v1, v2
	s_branch .LBB37_29
.LBB37_32:
	s_trap 2
	; divergent unreachable
	s_cbranch_execz .LBB37_25
	s_branch .LBB37_28
	.section	.rodata,"a",@progbits
	.p2align	6, 0x0
	.amdhsa_kernel _ZN2at6native12_GLOBAL__N_144conv_depthwise3d_cuda_backward_weight_kernelIffLin1ELin1EEEvN5torch10headeronly6detail27GenericPackedTensorAccessorINS5_14TensorAccessorIN3c108ArrayRefIlEEKT_Lm4ENS4_16DefaultPtrTraitsEiEENS_6detail16IndexBoundsCheckILm5EiEESC_Lm5ESD_iEESI_NS6_INS7_ISA_SB_Lm4ESD_iEESH_SB_Lm5ESD_iEEiiiiiiiii
		.amdhsa_group_segment_fixed_size 0
		.amdhsa_private_segment_fixed_size 0
		.amdhsa_kernarg_size 440
		.amdhsa_user_sgpr_count 2
		.amdhsa_user_sgpr_dispatch_ptr 0
		.amdhsa_user_sgpr_queue_ptr 0
		.amdhsa_user_sgpr_kernarg_segment_ptr 1
		.amdhsa_user_sgpr_dispatch_id 0
		.amdhsa_user_sgpr_kernarg_preload_length 0
		.amdhsa_user_sgpr_kernarg_preload_offset 0
		.amdhsa_user_sgpr_private_segment_size 0
		.amdhsa_uses_dynamic_stack 0
		.amdhsa_enable_private_segment 0
		.amdhsa_system_sgpr_workgroup_id_x 1
		.amdhsa_system_sgpr_workgroup_id_y 0
		.amdhsa_system_sgpr_workgroup_id_z 0
		.amdhsa_system_sgpr_workgroup_info 0
		.amdhsa_system_vgpr_workitem_id 0
		.amdhsa_next_free_vgpr 20
		.amdhsa_next_free_sgpr 55
		.amdhsa_accum_offset 20
		.amdhsa_reserve_vcc 1
		.amdhsa_float_round_mode_32 0
		.amdhsa_float_round_mode_16_64 0
		.amdhsa_float_denorm_mode_32 3
		.amdhsa_float_denorm_mode_16_64 3
		.amdhsa_dx10_clamp 1
		.amdhsa_ieee_mode 1
		.amdhsa_fp16_overflow 0
		.amdhsa_tg_split 0
		.amdhsa_exception_fp_ieee_invalid_op 0
		.amdhsa_exception_fp_denorm_src 0
		.amdhsa_exception_fp_ieee_div_zero 0
		.amdhsa_exception_fp_ieee_overflow 0
		.amdhsa_exception_fp_ieee_underflow 0
		.amdhsa_exception_fp_ieee_inexact 0
		.amdhsa_exception_int_div_zero 0
	.end_amdhsa_kernel
	.section	.text._ZN2at6native12_GLOBAL__N_144conv_depthwise3d_cuda_backward_weight_kernelIffLin1ELin1EEEvN5torch10headeronly6detail27GenericPackedTensorAccessorINS5_14TensorAccessorIN3c108ArrayRefIlEEKT_Lm4ENS4_16DefaultPtrTraitsEiEENS_6detail16IndexBoundsCheckILm5EiEESC_Lm5ESD_iEESI_NS6_INS7_ISA_SB_Lm4ESD_iEESH_SB_Lm5ESD_iEEiiiiiiiii,"axG",@progbits,_ZN2at6native12_GLOBAL__N_144conv_depthwise3d_cuda_backward_weight_kernelIffLin1ELin1EEEvN5torch10headeronly6detail27GenericPackedTensorAccessorINS5_14TensorAccessorIN3c108ArrayRefIlEEKT_Lm4ENS4_16DefaultPtrTraitsEiEENS_6detail16IndexBoundsCheckILm5EiEESC_Lm5ESD_iEESI_NS6_INS7_ISA_SB_Lm4ESD_iEESH_SB_Lm5ESD_iEEiiiiiiiii,comdat
.Lfunc_end37:
	.size	_ZN2at6native12_GLOBAL__N_144conv_depthwise3d_cuda_backward_weight_kernelIffLin1ELin1EEEvN5torch10headeronly6detail27GenericPackedTensorAccessorINS5_14TensorAccessorIN3c108ArrayRefIlEEKT_Lm4ENS4_16DefaultPtrTraitsEiEENS_6detail16IndexBoundsCheckILm5EiEESC_Lm5ESD_iEESI_NS6_INS7_ISA_SB_Lm4ESD_iEESH_SB_Lm5ESD_iEEiiiiiiiii, .Lfunc_end37-_ZN2at6native12_GLOBAL__N_144conv_depthwise3d_cuda_backward_weight_kernelIffLin1ELin1EEEvN5torch10headeronly6detail27GenericPackedTensorAccessorINS5_14TensorAccessorIN3c108ArrayRefIlEEKT_Lm4ENS4_16DefaultPtrTraitsEiEENS_6detail16IndexBoundsCheckILm5EiEESC_Lm5ESD_iEESI_NS6_INS7_ISA_SB_Lm4ESD_iEESH_SB_Lm5ESD_iEEiiiiiiiii
                                        ; -- End function
	.set _ZN2at6native12_GLOBAL__N_144conv_depthwise3d_cuda_backward_weight_kernelIffLin1ELin1EEEvN5torch10headeronly6detail27GenericPackedTensorAccessorINS5_14TensorAccessorIN3c108ArrayRefIlEEKT_Lm4ENS4_16DefaultPtrTraitsEiEENS_6detail16IndexBoundsCheckILm5EiEESC_Lm5ESD_iEESI_NS6_INS7_ISA_SB_Lm4ESD_iEESH_SB_Lm5ESD_iEEiiiiiiiii.num_vgpr, 20
	.set _ZN2at6native12_GLOBAL__N_144conv_depthwise3d_cuda_backward_weight_kernelIffLin1ELin1EEEvN5torch10headeronly6detail27GenericPackedTensorAccessorINS5_14TensorAccessorIN3c108ArrayRefIlEEKT_Lm4ENS4_16DefaultPtrTraitsEiEENS_6detail16IndexBoundsCheckILm5EiEESC_Lm5ESD_iEESI_NS6_INS7_ISA_SB_Lm4ESD_iEESH_SB_Lm5ESD_iEEiiiiiiiii.num_agpr, 0
	.set _ZN2at6native12_GLOBAL__N_144conv_depthwise3d_cuda_backward_weight_kernelIffLin1ELin1EEEvN5torch10headeronly6detail27GenericPackedTensorAccessorINS5_14TensorAccessorIN3c108ArrayRefIlEEKT_Lm4ENS4_16DefaultPtrTraitsEiEENS_6detail16IndexBoundsCheckILm5EiEESC_Lm5ESD_iEESI_NS6_INS7_ISA_SB_Lm4ESD_iEESH_SB_Lm5ESD_iEEiiiiiiiii.numbered_sgpr, 55
	.set _ZN2at6native12_GLOBAL__N_144conv_depthwise3d_cuda_backward_weight_kernelIffLin1ELin1EEEvN5torch10headeronly6detail27GenericPackedTensorAccessorINS5_14TensorAccessorIN3c108ArrayRefIlEEKT_Lm4ENS4_16DefaultPtrTraitsEiEENS_6detail16IndexBoundsCheckILm5EiEESC_Lm5ESD_iEESI_NS6_INS7_ISA_SB_Lm4ESD_iEESH_SB_Lm5ESD_iEEiiiiiiiii.num_named_barrier, 0
	.set _ZN2at6native12_GLOBAL__N_144conv_depthwise3d_cuda_backward_weight_kernelIffLin1ELin1EEEvN5torch10headeronly6detail27GenericPackedTensorAccessorINS5_14TensorAccessorIN3c108ArrayRefIlEEKT_Lm4ENS4_16DefaultPtrTraitsEiEENS_6detail16IndexBoundsCheckILm5EiEESC_Lm5ESD_iEESI_NS6_INS7_ISA_SB_Lm4ESD_iEESH_SB_Lm5ESD_iEEiiiiiiiii.private_seg_size, 0
	.set _ZN2at6native12_GLOBAL__N_144conv_depthwise3d_cuda_backward_weight_kernelIffLin1ELin1EEEvN5torch10headeronly6detail27GenericPackedTensorAccessorINS5_14TensorAccessorIN3c108ArrayRefIlEEKT_Lm4ENS4_16DefaultPtrTraitsEiEENS_6detail16IndexBoundsCheckILm5EiEESC_Lm5ESD_iEESI_NS6_INS7_ISA_SB_Lm4ESD_iEESH_SB_Lm5ESD_iEEiiiiiiiii.uses_vcc, 1
	.set _ZN2at6native12_GLOBAL__N_144conv_depthwise3d_cuda_backward_weight_kernelIffLin1ELin1EEEvN5torch10headeronly6detail27GenericPackedTensorAccessorINS5_14TensorAccessorIN3c108ArrayRefIlEEKT_Lm4ENS4_16DefaultPtrTraitsEiEENS_6detail16IndexBoundsCheckILm5EiEESC_Lm5ESD_iEESI_NS6_INS7_ISA_SB_Lm4ESD_iEESH_SB_Lm5ESD_iEEiiiiiiiii.uses_flat_scratch, 0
	.set _ZN2at6native12_GLOBAL__N_144conv_depthwise3d_cuda_backward_weight_kernelIffLin1ELin1EEEvN5torch10headeronly6detail27GenericPackedTensorAccessorINS5_14TensorAccessorIN3c108ArrayRefIlEEKT_Lm4ENS4_16DefaultPtrTraitsEiEENS_6detail16IndexBoundsCheckILm5EiEESC_Lm5ESD_iEESI_NS6_INS7_ISA_SB_Lm4ESD_iEESH_SB_Lm5ESD_iEEiiiiiiiii.has_dyn_sized_stack, 0
	.set _ZN2at6native12_GLOBAL__N_144conv_depthwise3d_cuda_backward_weight_kernelIffLin1ELin1EEEvN5torch10headeronly6detail27GenericPackedTensorAccessorINS5_14TensorAccessorIN3c108ArrayRefIlEEKT_Lm4ENS4_16DefaultPtrTraitsEiEENS_6detail16IndexBoundsCheckILm5EiEESC_Lm5ESD_iEESI_NS6_INS7_ISA_SB_Lm4ESD_iEESH_SB_Lm5ESD_iEEiiiiiiiii.has_recursion, 0
	.set _ZN2at6native12_GLOBAL__N_144conv_depthwise3d_cuda_backward_weight_kernelIffLin1ELin1EEEvN5torch10headeronly6detail27GenericPackedTensorAccessorINS5_14TensorAccessorIN3c108ArrayRefIlEEKT_Lm4ENS4_16DefaultPtrTraitsEiEENS_6detail16IndexBoundsCheckILm5EiEESC_Lm5ESD_iEESI_NS6_INS7_ISA_SB_Lm4ESD_iEESH_SB_Lm5ESD_iEEiiiiiiiii.has_indirect_call, 0
	.section	.AMDGPU.csdata,"",@progbits
; Kernel info:
; codeLenInByte = 1792
; TotalNumSgprs: 61
; NumVgprs: 20
; NumAgprs: 0
; TotalNumVgprs: 20
; ScratchSize: 0
; MemoryBound: 0
; FloatMode: 240
; IeeeMode: 1
; LDSByteSize: 0 bytes/workgroup (compile time only)
; SGPRBlocks: 7
; VGPRBlocks: 2
; NumSGPRsForWavesPerEU: 61
; NumVGPRsForWavesPerEU: 20
; AccumOffset: 20
; Occupancy: 8
; WaveLimiterHint : 1
; COMPUTE_PGM_RSRC2:SCRATCH_EN: 0
; COMPUTE_PGM_RSRC2:USER_SGPR: 2
; COMPUTE_PGM_RSRC2:TRAP_HANDLER: 0
; COMPUTE_PGM_RSRC2:TGID_X_EN: 1
; COMPUTE_PGM_RSRC2:TGID_Y_EN: 0
; COMPUTE_PGM_RSRC2:TGID_Z_EN: 0
; COMPUTE_PGM_RSRC2:TIDIG_COMP_CNT: 0
; COMPUTE_PGM_RSRC3_GFX90A:ACCUM_OFFSET: 4
; COMPUTE_PGM_RSRC3_GFX90A:TG_SPLIT: 0
	.section	.text._ZN2at6native12_GLOBAL__N_144conv_depthwise3d_cuda_backward_weight_kernelIN3c104HalfEfLi1ELi1EEEvN5torch10headeronly6detail27GenericPackedTensorAccessorINS7_14TensorAccessorINS3_8ArrayRefIlEEKT_Lm4ENS6_16DefaultPtrTraitsEiEENS_6detail16IndexBoundsCheckILm5EiEESD_Lm5ESE_iEESJ_NS8_INS9_ISB_SC_Lm4ESE_iEESI_SC_Lm5ESE_iEEiiiiiiiii,"axG",@progbits,_ZN2at6native12_GLOBAL__N_144conv_depthwise3d_cuda_backward_weight_kernelIN3c104HalfEfLi1ELi1EEEvN5torch10headeronly6detail27GenericPackedTensorAccessorINS7_14TensorAccessorINS3_8ArrayRefIlEEKT_Lm4ENS6_16DefaultPtrTraitsEiEENS_6detail16IndexBoundsCheckILm5EiEESD_Lm5ESE_iEESJ_NS8_INS9_ISB_SC_Lm4ESE_iEESI_SC_Lm5ESE_iEEiiiiiiiii,comdat
	.globl	_ZN2at6native12_GLOBAL__N_144conv_depthwise3d_cuda_backward_weight_kernelIN3c104HalfEfLi1ELi1EEEvN5torch10headeronly6detail27GenericPackedTensorAccessorINS7_14TensorAccessorINS3_8ArrayRefIlEEKT_Lm4ENS6_16DefaultPtrTraitsEiEENS_6detail16IndexBoundsCheckILm5EiEESD_Lm5ESE_iEESJ_NS8_INS9_ISB_SC_Lm4ESE_iEESI_SC_Lm5ESE_iEEiiiiiiiii ; -- Begin function _ZN2at6native12_GLOBAL__N_144conv_depthwise3d_cuda_backward_weight_kernelIN3c104HalfEfLi1ELi1EEEvN5torch10headeronly6detail27GenericPackedTensorAccessorINS7_14TensorAccessorINS3_8ArrayRefIlEEKT_Lm4ENS6_16DefaultPtrTraitsEiEENS_6detail16IndexBoundsCheckILm5EiEESD_Lm5ESE_iEESJ_NS8_INS9_ISB_SC_Lm4ESE_iEESI_SC_Lm5ESE_iEEiiiiiiiii
	.p2align	8
	.type	_ZN2at6native12_GLOBAL__N_144conv_depthwise3d_cuda_backward_weight_kernelIN3c104HalfEfLi1ELi1EEEvN5torch10headeronly6detail27GenericPackedTensorAccessorINS7_14TensorAccessorINS3_8ArrayRefIlEEKT_Lm4ENS6_16DefaultPtrTraitsEiEENS_6detail16IndexBoundsCheckILm5EiEESD_Lm5ESE_iEESJ_NS8_INS9_ISB_SC_Lm4ESE_iEESI_SC_Lm5ESE_iEEiiiiiiiii,@function
_ZN2at6native12_GLOBAL__N_144conv_depthwise3d_cuda_backward_weight_kernelIN3c104HalfEfLi1ELi1EEEvN5torch10headeronly6detail27GenericPackedTensorAccessorINS7_14TensorAccessorINS3_8ArrayRefIlEEKT_Lm4ENS6_16DefaultPtrTraitsEiEENS_6detail16IndexBoundsCheckILm5EiEESD_Lm5ESE_iEESJ_NS8_INS9_ISB_SC_Lm4ESE_iEESI_SC_Lm5ESE_iEEiiiiiiiii: ; @_ZN2at6native12_GLOBAL__N_144conv_depthwise3d_cuda_backward_weight_kernelIN3c104HalfEfLi1ELi1EEEvN5torch10headeronly6detail27GenericPackedTensorAccessorINS7_14TensorAccessorINS3_8ArrayRefIlEEKT_Lm4ENS6_16DefaultPtrTraitsEiEENS_6detail16IndexBoundsCheckILm5EiEESD_Lm5ESE_iEESJ_NS8_INS9_ISB_SC_Lm4ESE_iEESI_SC_Lm5ESE_iEEiiiiiiiii
; %bb.0:
	s_load_dwordx4 s[4:7], s[0:1], 0x70
	s_add_u32 s20, s0, 0x60
	s_addc_u32 s21, s1, 0
	s_load_dwordx4 s[12:15], s[0:1], 0x3c
	s_load_dwordx4 s[16:19], s[0:1], 0xc
	s_waitcnt lgkmcnt(0)
	v_cvt_f32_u32_e32 v1, s6
	v_cvt_f32_u32_e32 v2, s5
	s_sub_i32 s3, 0, s6
	v_rcp_iflag_f32_e32 v1, v1
	v_rcp_iflag_f32_e32 v2, v2
	v_mul_f32_e32 v1, 0x4f7ffffe, v1
	v_cvt_u32_f32_e32 v1, v1
	v_mul_f32_e32 v2, 0x4f7ffffe, v2
	v_cvt_u32_f32_e32 v2, v2
	v_readfirstlane_b32 s8, v1
	s_mul_i32 s3, s3, s8
	s_mul_hi_u32 s3, s8, s3
	s_add_i32 s8, s8, s3
	s_mul_hi_u32 s3, s2, s8
	s_mul_i32 s8, s3, s6
	s_sub_i32 s8, s2, s8
	s_add_i32 s10, s3, 1
	s_sub_i32 s11, s8, s6
	s_cmp_ge_u32 s8, s6
	s_cselect_b32 s3, s10, s3
	s_cselect_b32 s8, s11, s8
	s_add_i32 s10, s3, 1
	s_cmp_ge_u32 s8, s6
	v_cvt_f32_u32_e32 v1, s4
	v_readfirstlane_b32 s9, v2
	s_cselect_b32 s3, s10, s3
	s_sub_i32 s8, 0, s5
	s_mul_i32 s8, s8, s9
	s_mul_hi_u32 s8, s9, s8
	s_add_i32 s9, s9, s8
	v_rcp_iflag_f32_e32 v1, v1
	s_mul_hi_u32 s8, s3, s9
	s_mul_i32 s9, s8, s5
	s_sub_i32 s9, s3, s9
	s_add_i32 s10, s8, 1
	s_sub_i32 s11, s9, s5
	v_mul_f32_e32 v1, 0x4f7ffffe, v1
	s_cmp_ge_u32 s9, s5
	v_cvt_u32_f32_e32 v1, v1
	s_cselect_b32 s8, s10, s8
	s_cselect_b32 s9, s11, s9
	s_add_i32 s10, s8, 1
	s_cmp_ge_u32 s9, s5
	s_cselect_b32 s22, s10, s8
	s_sub_i32 s8, 0, s4
	v_readfirstlane_b32 s9, v1
	s_mul_i32 s8, s8, s9
	s_mul_hi_u32 s8, s9, s8
	s_add_i32 s9, s9, s8
	s_mul_hi_u32 s8, s22, s9
	s_mul_i32 s9, s8, s4
	s_sub_i32 s9, s22, s9
	s_add_i32 s10, s8, 1
	s_sub_i32 s11, s9, s4
	s_cmp_ge_u32 s9, s4
	s_cselect_b32 s8, s10, s8
	s_cselect_b32 s9, s11, s9
	s_add_i32 s10, s8, 1
	s_cmp_ge_u32 s9, s4
	s_cselect_b32 s33, s10, s8
	s_abs_i32 s8, s12
	v_cvt_f32_u32_e32 v1, s8
	s_xor_b32 s9, s16, s12
	s_sub_i32 s11, 0, s8
	s_abs_i32 s10, s16
	v_rcp_iflag_f32_e32 v1, v1
	s_ashr_i32 s9, s9, 31
	v_mul_f32_e32 v1, 0x4f7ffffe, v1
	v_cvt_u32_f32_e32 v1, v1
	s_nop 0
	v_readfirstlane_b32 s12, v1
	s_mul_i32 s11, s11, s12
	s_mul_hi_u32 s11, s12, s11
	s_add_i32 s12, s12, s11
	s_mul_hi_u32 s11, s10, s12
	s_mul_i32 s12, s11, s8
	s_sub_i32 s10, s10, s12
	s_add_i32 s12, s11, 1
	s_sub_i32 s16, s10, s8
	s_cmp_ge_u32 s10, s8
	s_cselect_b32 s11, s12, s11
	s_cselect_b32 s10, s16, s10
	s_add_i32 s12, s11, 1
	s_cmp_ge_u32 s10, s8
	s_cselect_b32 s8, s12, s11
	s_xor_b32 s8, s8, s9
	s_sub_i32 s24, s8, s9
	s_abs_i32 s23, s24
	v_cvt_f32_u32_e32 v1, s23
	s_load_dword s8, s[0:1], 0x68
	v_rcp_iflag_f32_e32 v1, v1
	s_waitcnt lgkmcnt(0)
	s_cmp_ge_i32 s33, s8
	v_mul_f32_e32 v1, 0x4f7ffffe, v1
	v_cvt_u32_f32_e32 v1, v1
	s_nop 0
	v_readfirstlane_b32 s25, v1
	s_cbranch_scc1 .LBB38_28
; %bb.1:
	s_mul_i32 s6, s3, s6
	s_sub_i32 s6, s2, s6
	s_mul_i32 s2, s22, s5
	s_load_dwordx2 s[34:35], s[20:21], 0x0
	s_load_dwordx4 s[8:11], s[20:21], 0x24
	s_sub_i32 s12, s3, s2
	s_load_dword s2, s[0:1], 0xc4
	s_load_dword s51, s[0:1], 0x38
	s_mul_i32 s3, s33, s4
	v_lshrrev_b32_e32 v1, 6, v0
	s_sub_i32 s16, s22, s3
	s_waitcnt lgkmcnt(0)
	s_and_b32 s50, s2, 0xffff
	s_mul_i32 s51, s51, s17
	v_cmp_gt_i32_e32 vcc, s51, v1
	v_mov_b32_e32 v2, 0
	s_and_saveexec_b64 s[36:37], vcc
	s_cbranch_execz .LBB38_23
; %bb.2:
	s_sub_i32 s5, 0, s23
	s_mul_i32 s5, s5, s25
	s_mul_hi_u32 s5, s25, s5
	s_abs_i32 s4, s33
	s_add_i32 s25, s25, s5
	s_ashr_i32 s2, s33, 31
	s_ashr_i32 s3, s24, 31
	s_mul_hi_u32 s5, s4, s25
	s_xor_b32 s20, s2, s3
	s_mul_i32 s2, s5, s23
	s_sub_i32 s2, s4, s2
	s_lshr_b32 s52, s50, 6
	s_add_i32 s3, s5, 1
	s_sub_i32 s4, s2, s23
	s_cmp_ge_u32 s2, s23
	s_cselect_b32 s3, s3, s5
	s_cselect_b32 s2, s4, s2
	s_add_i32 s4, s3, 1
	s_cmp_ge_u32 s2, s23
	s_cselect_b32 s4, s4, s3
	s_abs_i32 s5, s17
	v_cvt_f32_u32_e32 v3, s5
	s_xor_b32 s4, s4, s20
	s_sub_i32 s42, s4, s20
	s_sub_i32 s4, 0, s5
	v_rcp_iflag_f32_e32 v3, v3
	s_load_dwordx4 s[28:31], s[0:1], 0x9c
	s_load_dwordx2 s[2:3], s[0:1], 0xac
	s_ashr_i32 s24, s17, 31
	v_and_b32_e32 v2, 63, v0
	v_mul_f32_e32 v3, 0x4f7ffffe, v3
	v_cvt_u32_f32_e32 v3, v3
	v_mul_lo_u32 v4, s4, v3
	v_mul_hi_u32 v4, v3, v4
	v_add_u32_e32 v3, v3, v4
	v_mul_hi_u32 v3, v1, v3
	v_mul_lo_u32 v4, v3, s5
	v_sub_u32_e32 v4, v1, v4
	v_add_u32_e32 v5, 1, v3
	v_cmp_le_u32_e32 vcc, s5, v4
	s_nop 1
	v_cndmask_b32_e32 v3, v3, v5, vcc
	v_subrev_u32_e32 v5, s5, v4
	v_cndmask_b32_e32 v4, v4, v5, vcc
	v_add_u32_e32 v5, 1, v3
	v_cmp_le_u32_e32 vcc, s5, v4
	s_load_dwordx2 s[4:5], s[0:1], 0x0
	s_load_dwordx4 s[20:23], s[0:1], 0x1c
	v_cndmask_b32_e32 v3, v3, v5, vcc
	v_xor_b32_e32 v3, s24, v3
	v_subrev_u32_e32 v9, s24, v3
	s_load_dwordx2 s[40:41], s[0:1], 0x30
	s_load_dwordx4 s[24:27], s[0:1], 0x4c
	s_waitcnt lgkmcnt(0)
	s_mul_i32 s38, s21, s33
	s_mul_i32 s23, s16, s31
	s_ashr_i32 s39, s38, 31
	s_sub_i32 s23, s23, s28
	s_lshl_b64 s[0:1], s[38:39], 1
	s_add_u32 s38, s4, s0
	s_mul_i32 s0, s25, s42
	s_addc_u32 s39, s5, s1
	s_ashr_i32 s1, s0, 31
	s_lshl_b64 s[0:1], s[0:1], 1
	s_add_u32 s40, s40, s0
	s_addc_u32 s41, s41, s1
	s_abs_i32 s0, s19
	v_cvt_f32_u32_e32 v4, s0
	s_mul_i32 s1, s6, s3
	s_sub_i32 s21, s1, s30
	s_mul_i32 s1, s12, s2
	v_rcp_iflag_f32_e32 v4, v4
	s_sub_i32 s2, 0, s0
	s_sub_i32 s25, s1, s29
	s_ashr_i32 s1, s19, 31
	v_mul_f32_e32 v4, 0x4f7ffffe, v4
	v_cvt_u32_f32_e32 v4, v4
	v_mul_lo_u32 v3, v9, s17
	v_sub_u32_e32 v10, v1, v3
	v_mov_b32_e32 v3, 0
	v_mul_lo_u32 v5, s2, v4
	v_mul_hi_u32 v5, v4, v5
	v_add_u32_e32 v4, v4, v5
	v_mul_hi_u32 v4, v2, v4
	v_mul_lo_u32 v5, v4, s0
	v_sub_u32_e32 v5, v2, v5
	v_add_u32_e32 v6, 1, v4
	v_cmp_le_u32_e32 vcc, s0, v5
	s_mov_b64 s[28:29], 0
	s_mov_b64 s[30:31], 0x80
	v_cndmask_b32_e32 v4, v4, v6, vcc
	v_subrev_u32_e32 v6, s0, v5
	v_cndmask_b32_e32 v5, v5, v6, vcc
	v_add_u32_e32 v6, 1, v4
	v_cmp_le_u32_e32 vcc, s0, v5
	v_mov_b32_e32 v13, v3
	s_nop 0
	v_cndmask_b32_e32 v4, v4, v6, vcc
	v_xor_b32_e32 v4, s1, v4
	v_subrev_u32_e32 v11, s1, v4
	v_mul_lo_u32 v4, v11, s19
	v_cmp_gt_i32_e32 vcc, s18, v11
	v_sub_u32_e32 v12, v2, v4
	v_lshlrev_b32_e32 v2, 1, v2
	s_branch .LBB38_6
.LBB38_3:                               ;   in Loop: Header=BB38_6 Depth=1
	s_or_b64 exec, exec, s[46:47]
.LBB38_4:                               ;   in Loop: Header=BB38_6 Depth=1
	s_or_b64 exec, exec, s[44:45]
.LBB38_5:                               ;   in Loop: Header=BB38_6 Depth=1
	s_or_b64 exec, exec, s[42:43]
	v_add_u32_e32 v1, s52, v1
	v_cmp_le_i32_e64 s[0:1], s51, v1
	s_or_b64 s[28:29], s[0:1], s[28:29]
	v_add_u32_e32 v10, s52, v10
	s_andn2_b64 exec, exec, s[28:29]
	s_cbranch_execz .LBB38_22
.LBB38_6:                               ; =>This Loop Header: Depth=1
                                        ;     Child Loop BB38_8 Depth 2
                                        ;     Child Loop BB38_14 Depth 2
                                        ;       Child Loop BB38_20 Depth 3
	v_cmp_le_i32_e64 s[0:1], s17, v10
	s_and_saveexec_b64 s[2:3], s[0:1]
	s_cbranch_execz .LBB38_10
; %bb.7:                                ;   in Loop: Header=BB38_6 Depth=1
	s_mov_b64 s[4:5], 0
.LBB38_8:                               ;   Parent Loop BB38_6 Depth=1
                                        ; =>  This Inner Loop Header: Depth=2
	v_subrev_u32_e32 v10, s17, v10
	v_cmp_gt_i32_e64 s[0:1], s17, v10
	s_or_b64 s[4:5], s[0:1], s[4:5]
	v_add_u32_e32 v9, 1, v9
	s_andn2_b64 exec, exec, s[4:5]
	s_cbranch_execnz .LBB38_8
; %bb.9:                                ;   in Loop: Header=BB38_6 Depth=1
	s_or_b64 exec, exec, s[4:5]
.LBB38_10:                              ;   in Loop: Header=BB38_6 Depth=1
	s_or_b64 exec, exec, s[2:3]
	v_mul_lo_u32 v4, v10, s11
	v_add_u32_e32 v4, s23, v4
	v_cmp_lt_i32_e64 s[0:1], -1, v4
	v_cmp_gt_i32_e64 s[2:3], s13, v4
	s_and_b64 s[0:1], s[0:1], s[2:3]
	s_and_saveexec_b64 s[42:43], s[0:1]
	s_cbranch_execz .LBB38_5
; %bb.11:                               ;   in Loop: Header=BB38_6 Depth=1
	s_and_saveexec_b64 s[44:45], vcc
	s_cbranch_execz .LBB38_4
; %bb.12:                               ;   in Loop: Header=BB38_6 Depth=1
	v_mul_lo_u32 v6, s24, v9
	v_ashrrev_i32_e32 v7, 31, v6
	v_mul_lo_u32 v4, s26, v4
	v_lshl_add_u64 v[6:7], v[6:7], 1, s[40:41]
	v_ashrrev_i32_e32 v5, 31, v4
	v_lshl_add_u64 v[4:5], v[4:5], 1, v[6:7]
	v_mul_lo_u32 v6, s20, v9
	v_ashrrev_i32_e32 v7, 31, v6
	v_mul_lo_u32 v14, s22, v10
	v_lshl_add_u64 v[6:7], v[6:7], 1, s[38:39]
	v_ashrrev_i32_e32 v15, 31, v14
	v_lshl_add_u64 v[6:7], v[14:15], 1, v[6:7]
	v_lshl_add_u64 v[6:7], v[6:7], 0, v[2:3]
	s_mov_b64 s[46:47], 0
	v_mov_b32_e32 v14, v12
	v_mov_b32_e32 v15, v11
	s_branch .LBB38_14
.LBB38_13:                              ;   in Loop: Header=BB38_14 Depth=2
	s_or_b64 exec, exec, s[2:3]
	v_cmp_le_i32_e64 s[0:1], s18, v15
	v_lshl_add_u64 v[6:7], v[6:7], 0, s[30:31]
	s_or_b64 s[46:47], s[0:1], s[46:47]
	s_waitcnt vmcnt(0)
	v_fma_mix_f32 v13, v17, v16, v13 op_sel_hi:[0,1,0]
	s_andn2_b64 exec, exec, s[46:47]
	s_cbranch_execz .LBB38_3
.LBB38_14:                              ;   Parent Loop BB38_6 Depth=1
                                        ; =>  This Loop Header: Depth=2
                                        ;       Child Loop BB38_20 Depth 3
	global_load_ushort v16, v[6:7], off
	v_add_u32_e32 v8, s21, v14
	v_cmp_lt_i32_e64 s[0:1], -1, v8
	v_mov_b32_e32 v17, 0
	s_and_saveexec_b64 s[48:49], s[0:1]
	s_cbranch_execz .LBB38_18
; %bb.15:                               ;   in Loop: Header=BB38_14 Depth=2
	v_add_u32_e32 v18, s25, v15
	v_cmp_gt_i32_e64 s[0:1], s15, v8
	v_cmp_gt_i32_e64 s[4:5], s14, v18
	v_cmp_lt_i32_e64 s[2:3], -1, v18
	s_and_b64 s[0:1], s[0:1], s[4:5]
	s_and_b64 s[2:3], s[0:1], s[2:3]
	v_mov_b32_e32 v17, 0
	s_and_saveexec_b64 s[0:1], s[2:3]
	s_cbranch_execz .LBB38_17
; %bb.16:                               ;   in Loop: Header=BB38_14 Depth=2
	v_mad_u64_u32 v[18:19], s[2:3], v18, s15, v[8:9]
	v_mov_b32_e32 v19, v3
	v_lshl_add_u64 v[18:19], v[18:19], 1, v[4:5]
	global_load_ushort v8, v[18:19], off
	s_waitcnt vmcnt(0)
	v_cvt_f32_f16_e32 v17, v8
.LBB38_17:                              ;   in Loop: Header=BB38_14 Depth=2
	s_or_b64 exec, exec, s[0:1]
.LBB38_18:                              ;   in Loop: Header=BB38_14 Depth=2
	s_or_b64 exec, exec, s[48:49]
	v_add_u32_e32 v14, 64, v14
	v_cmp_le_i32_e64 s[0:1], s19, v14
	s_and_saveexec_b64 s[2:3], s[0:1]
	s_cbranch_execz .LBB38_13
; %bb.19:                               ;   in Loop: Header=BB38_14 Depth=2
	s_mov_b64 s[4:5], 0
.LBB38_20:                              ;   Parent Loop BB38_6 Depth=1
                                        ;     Parent Loop BB38_14 Depth=2
                                        ; =>    This Inner Loop Header: Depth=3
	v_subrev_u32_e32 v14, s19, v14
	v_cmp_gt_i32_e64 s[0:1], s19, v14
	s_or_b64 s[4:5], s[0:1], s[4:5]
	v_add_u32_e32 v15, 1, v15
	s_andn2_b64 exec, exec, s[4:5]
	s_cbranch_execnz .LBB38_20
; %bb.21:                               ;   in Loop: Header=BB38_14 Depth=2
	s_or_b64 exec, exec, s[4:5]
	s_branch .LBB38_13
.LBB38_22:
	s_or_b64 exec, exec, s[28:29]
	v_cvt_f16_f32_e32 v2, v13
.LBB38_23:
	s_or_b64 exec, exec, s[36:37]
	s_bcnt1_i32_b32 s0, s50
	v_lshl_add_u32 v1, v0, 1, 0
	s_cmp_lg_u32 s0, 1
	s_mov_b64 s[0:1], -1
	ds_write_b16 v1, v2
	s_waitcnt lgkmcnt(0)
	s_barrier
	s_cbranch_scc1 .LBB38_32
; %bb.24:
	s_andn2_b64 vcc, exec, s[0:1]
	s_cbranch_vccnz .LBB38_28
.LBB38_25:
	s_cmp_lt_u32 s50, 2
	s_cbranch_scc0 .LBB38_30
.LBB38_26:
	v_cmp_eq_u32_e32 vcc, 0, v0
	s_and_saveexec_b64 s[0:1], vcc
	s_cbranch_execz .LBB38_28
; %bb.27:
	s_mul_i32 s0, s7, s33
	s_ashr_i32 s1, s0, 31
	s_lshl_b64 s[0:1], s[0:1], 1
	s_add_u32 s2, s34, s0
	s_mul_i32 s0, s8, s16
	s_addc_u32 s3, s35, s1
	s_ashr_i32 s1, s0, 31
	s_lshl_b64 s[0:1], s[0:1], 1
	s_add_u32 s2, s2, s0
	s_mul_i32 s0, s9, s12
	s_addc_u32 s3, s3, s1
	s_ashr_i32 s1, s0, 31
	s_lshl_b64 s[0:1], s[0:1], 1
	v_mov_b32_e32 v0, 0
	s_add_u32 s2, s2, s0
	s_mul_i32 s0, s10, s6
	ds_read_u16 v1, v0
	s_addc_u32 s3, s3, s1
	s_ashr_i32 s1, s0, 31
	s_lshl_b64 s[0:1], s[0:1], 1
	s_add_u32 s0, s2, s0
	s_addc_u32 s1, s3, s1
	s_waitcnt lgkmcnt(0)
	global_store_short v0, v1, s[0:1]
.LBB38_28:
	s_endpgm
.LBB38_29:                              ;   in Loop: Header=BB38_30 Depth=1
	s_or_b64 exec, exec, s[0:1]
	s_cmp_lt_u32 s50, 4
	s_mov_b32 s50, s2
	s_waitcnt lgkmcnt(0)
	s_barrier
	s_cbranch_scc1 .LBB38_26
.LBB38_30:                              ; =>This Inner Loop Header: Depth=1
	s_lshr_b32 s2, s50, 1
	v_cmp_gt_u32_e32 vcc, s2, v0
	s_and_saveexec_b64 s[0:1], vcc
	s_cbranch_execz .LBB38_29
; %bb.31:                               ;   in Loop: Header=BB38_30 Depth=1
	v_lshl_add_u32 v2, s2, 1, v1
	ds_read_u16 v2, v2
	ds_read_u16 v3, v1
	s_waitcnt lgkmcnt(0)
	v_add_f16_e32 v2, v2, v3
	ds_write_b16 v1, v2
	s_branch .LBB38_29
.LBB38_32:
	s_trap 2
	; divergent unreachable
	s_cbranch_execz .LBB38_25
	s_branch .LBB38_28
	.section	.rodata,"a",@progbits
	.p2align	6, 0x0
	.amdhsa_kernel _ZN2at6native12_GLOBAL__N_144conv_depthwise3d_cuda_backward_weight_kernelIN3c104HalfEfLi1ELi1EEEvN5torch10headeronly6detail27GenericPackedTensorAccessorINS7_14TensorAccessorINS3_8ArrayRefIlEEKT_Lm4ENS6_16DefaultPtrTraitsEiEENS_6detail16IndexBoundsCheckILm5EiEESD_Lm5ESE_iEESJ_NS8_INS9_ISB_SC_Lm4ESE_iEESI_SC_Lm5ESE_iEEiiiiiiiii
		.amdhsa_group_segment_fixed_size 0
		.amdhsa_private_segment_fixed_size 0
		.amdhsa_kernarg_size 440
		.amdhsa_user_sgpr_count 2
		.amdhsa_user_sgpr_dispatch_ptr 0
		.amdhsa_user_sgpr_queue_ptr 0
		.amdhsa_user_sgpr_kernarg_segment_ptr 1
		.amdhsa_user_sgpr_dispatch_id 0
		.amdhsa_user_sgpr_kernarg_preload_length 0
		.amdhsa_user_sgpr_kernarg_preload_offset 0
		.amdhsa_user_sgpr_private_segment_size 0
		.amdhsa_uses_dynamic_stack 0
		.amdhsa_enable_private_segment 0
		.amdhsa_system_sgpr_workgroup_id_x 1
		.amdhsa_system_sgpr_workgroup_id_y 0
		.amdhsa_system_sgpr_workgroup_id_z 0
		.amdhsa_system_sgpr_workgroup_info 0
		.amdhsa_system_vgpr_workitem_id 0
		.amdhsa_next_free_vgpr 20
		.amdhsa_next_free_sgpr 53
		.amdhsa_accum_offset 20
		.amdhsa_reserve_vcc 1
		.amdhsa_float_round_mode_32 0
		.amdhsa_float_round_mode_16_64 0
		.amdhsa_float_denorm_mode_32 3
		.amdhsa_float_denorm_mode_16_64 3
		.amdhsa_dx10_clamp 1
		.amdhsa_ieee_mode 1
		.amdhsa_fp16_overflow 0
		.amdhsa_tg_split 0
		.amdhsa_exception_fp_ieee_invalid_op 0
		.amdhsa_exception_fp_denorm_src 0
		.amdhsa_exception_fp_ieee_div_zero 0
		.amdhsa_exception_fp_ieee_overflow 0
		.amdhsa_exception_fp_ieee_underflow 0
		.amdhsa_exception_fp_ieee_inexact 0
		.amdhsa_exception_int_div_zero 0
	.end_amdhsa_kernel
	.section	.text._ZN2at6native12_GLOBAL__N_144conv_depthwise3d_cuda_backward_weight_kernelIN3c104HalfEfLi1ELi1EEEvN5torch10headeronly6detail27GenericPackedTensorAccessorINS7_14TensorAccessorINS3_8ArrayRefIlEEKT_Lm4ENS6_16DefaultPtrTraitsEiEENS_6detail16IndexBoundsCheckILm5EiEESD_Lm5ESE_iEESJ_NS8_INS9_ISB_SC_Lm4ESE_iEESI_SC_Lm5ESE_iEEiiiiiiiii,"axG",@progbits,_ZN2at6native12_GLOBAL__N_144conv_depthwise3d_cuda_backward_weight_kernelIN3c104HalfEfLi1ELi1EEEvN5torch10headeronly6detail27GenericPackedTensorAccessorINS7_14TensorAccessorINS3_8ArrayRefIlEEKT_Lm4ENS6_16DefaultPtrTraitsEiEENS_6detail16IndexBoundsCheckILm5EiEESD_Lm5ESE_iEESJ_NS8_INS9_ISB_SC_Lm4ESE_iEESI_SC_Lm5ESE_iEEiiiiiiiii,comdat
.Lfunc_end38:
	.size	_ZN2at6native12_GLOBAL__N_144conv_depthwise3d_cuda_backward_weight_kernelIN3c104HalfEfLi1ELi1EEEvN5torch10headeronly6detail27GenericPackedTensorAccessorINS7_14TensorAccessorINS3_8ArrayRefIlEEKT_Lm4ENS6_16DefaultPtrTraitsEiEENS_6detail16IndexBoundsCheckILm5EiEESD_Lm5ESE_iEESJ_NS8_INS9_ISB_SC_Lm4ESE_iEESI_SC_Lm5ESE_iEEiiiiiiiii, .Lfunc_end38-_ZN2at6native12_GLOBAL__N_144conv_depthwise3d_cuda_backward_weight_kernelIN3c104HalfEfLi1ELi1EEEvN5torch10headeronly6detail27GenericPackedTensorAccessorINS7_14TensorAccessorINS3_8ArrayRefIlEEKT_Lm4ENS6_16DefaultPtrTraitsEiEENS_6detail16IndexBoundsCheckILm5EiEESD_Lm5ESE_iEESJ_NS8_INS9_ISB_SC_Lm4ESE_iEESI_SC_Lm5ESE_iEEiiiiiiiii
                                        ; -- End function
	.set _ZN2at6native12_GLOBAL__N_144conv_depthwise3d_cuda_backward_weight_kernelIN3c104HalfEfLi1ELi1EEEvN5torch10headeronly6detail27GenericPackedTensorAccessorINS7_14TensorAccessorINS3_8ArrayRefIlEEKT_Lm4ENS6_16DefaultPtrTraitsEiEENS_6detail16IndexBoundsCheckILm5EiEESD_Lm5ESE_iEESJ_NS8_INS9_ISB_SC_Lm4ESE_iEESI_SC_Lm5ESE_iEEiiiiiiiii.num_vgpr, 20
	.set _ZN2at6native12_GLOBAL__N_144conv_depthwise3d_cuda_backward_weight_kernelIN3c104HalfEfLi1ELi1EEEvN5torch10headeronly6detail27GenericPackedTensorAccessorINS7_14TensorAccessorINS3_8ArrayRefIlEEKT_Lm4ENS6_16DefaultPtrTraitsEiEENS_6detail16IndexBoundsCheckILm5EiEESD_Lm5ESE_iEESJ_NS8_INS9_ISB_SC_Lm4ESE_iEESI_SC_Lm5ESE_iEEiiiiiiiii.num_agpr, 0
	.set _ZN2at6native12_GLOBAL__N_144conv_depthwise3d_cuda_backward_weight_kernelIN3c104HalfEfLi1ELi1EEEvN5torch10headeronly6detail27GenericPackedTensorAccessorINS7_14TensorAccessorINS3_8ArrayRefIlEEKT_Lm4ENS6_16DefaultPtrTraitsEiEENS_6detail16IndexBoundsCheckILm5EiEESD_Lm5ESE_iEESJ_NS8_INS9_ISB_SC_Lm4ESE_iEESI_SC_Lm5ESE_iEEiiiiiiiii.numbered_sgpr, 53
	.set _ZN2at6native12_GLOBAL__N_144conv_depthwise3d_cuda_backward_weight_kernelIN3c104HalfEfLi1ELi1EEEvN5torch10headeronly6detail27GenericPackedTensorAccessorINS7_14TensorAccessorINS3_8ArrayRefIlEEKT_Lm4ENS6_16DefaultPtrTraitsEiEENS_6detail16IndexBoundsCheckILm5EiEESD_Lm5ESE_iEESJ_NS8_INS9_ISB_SC_Lm4ESE_iEESI_SC_Lm5ESE_iEEiiiiiiiii.num_named_barrier, 0
	.set _ZN2at6native12_GLOBAL__N_144conv_depthwise3d_cuda_backward_weight_kernelIN3c104HalfEfLi1ELi1EEEvN5torch10headeronly6detail27GenericPackedTensorAccessorINS7_14TensorAccessorINS3_8ArrayRefIlEEKT_Lm4ENS6_16DefaultPtrTraitsEiEENS_6detail16IndexBoundsCheckILm5EiEESD_Lm5ESE_iEESJ_NS8_INS9_ISB_SC_Lm4ESE_iEESI_SC_Lm5ESE_iEEiiiiiiiii.private_seg_size, 0
	.set _ZN2at6native12_GLOBAL__N_144conv_depthwise3d_cuda_backward_weight_kernelIN3c104HalfEfLi1ELi1EEEvN5torch10headeronly6detail27GenericPackedTensorAccessorINS7_14TensorAccessorINS3_8ArrayRefIlEEKT_Lm4ENS6_16DefaultPtrTraitsEiEENS_6detail16IndexBoundsCheckILm5EiEESD_Lm5ESE_iEESJ_NS8_INS9_ISB_SC_Lm4ESE_iEESI_SC_Lm5ESE_iEEiiiiiiiii.uses_vcc, 1
	.set _ZN2at6native12_GLOBAL__N_144conv_depthwise3d_cuda_backward_weight_kernelIN3c104HalfEfLi1ELi1EEEvN5torch10headeronly6detail27GenericPackedTensorAccessorINS7_14TensorAccessorINS3_8ArrayRefIlEEKT_Lm4ENS6_16DefaultPtrTraitsEiEENS_6detail16IndexBoundsCheckILm5EiEESD_Lm5ESE_iEESJ_NS8_INS9_ISB_SC_Lm4ESE_iEESI_SC_Lm5ESE_iEEiiiiiiiii.uses_flat_scratch, 0
	.set _ZN2at6native12_GLOBAL__N_144conv_depthwise3d_cuda_backward_weight_kernelIN3c104HalfEfLi1ELi1EEEvN5torch10headeronly6detail27GenericPackedTensorAccessorINS7_14TensorAccessorINS3_8ArrayRefIlEEKT_Lm4ENS6_16DefaultPtrTraitsEiEENS_6detail16IndexBoundsCheckILm5EiEESD_Lm5ESE_iEESJ_NS8_INS9_ISB_SC_Lm4ESE_iEESI_SC_Lm5ESE_iEEiiiiiiiii.has_dyn_sized_stack, 0
	.set _ZN2at6native12_GLOBAL__N_144conv_depthwise3d_cuda_backward_weight_kernelIN3c104HalfEfLi1ELi1EEEvN5torch10headeronly6detail27GenericPackedTensorAccessorINS7_14TensorAccessorINS3_8ArrayRefIlEEKT_Lm4ENS6_16DefaultPtrTraitsEiEENS_6detail16IndexBoundsCheckILm5EiEESD_Lm5ESE_iEESJ_NS8_INS9_ISB_SC_Lm4ESE_iEESI_SC_Lm5ESE_iEEiiiiiiiii.has_recursion, 0
	.set _ZN2at6native12_GLOBAL__N_144conv_depthwise3d_cuda_backward_weight_kernelIN3c104HalfEfLi1ELi1EEEvN5torch10headeronly6detail27GenericPackedTensorAccessorINS7_14TensorAccessorINS3_8ArrayRefIlEEKT_Lm4ENS6_16DefaultPtrTraitsEiEENS_6detail16IndexBoundsCheckILm5EiEESD_Lm5ESE_iEESJ_NS8_INS9_ISB_SC_Lm4ESE_iEESI_SC_Lm5ESE_iEEiiiiiiiii.has_indirect_call, 0
	.section	.AMDGPU.csdata,"",@progbits
; Kernel info:
; codeLenInByte = 1804
; TotalNumSgprs: 59
; NumVgprs: 20
; NumAgprs: 0
; TotalNumVgprs: 20
; ScratchSize: 0
; MemoryBound: 0
; FloatMode: 240
; IeeeMode: 1
; LDSByteSize: 0 bytes/workgroup (compile time only)
; SGPRBlocks: 7
; VGPRBlocks: 2
; NumSGPRsForWavesPerEU: 59
; NumVGPRsForWavesPerEU: 20
; AccumOffset: 20
; Occupancy: 8
; WaveLimiterHint : 1
; COMPUTE_PGM_RSRC2:SCRATCH_EN: 0
; COMPUTE_PGM_RSRC2:USER_SGPR: 2
; COMPUTE_PGM_RSRC2:TRAP_HANDLER: 0
; COMPUTE_PGM_RSRC2:TGID_X_EN: 1
; COMPUTE_PGM_RSRC2:TGID_Y_EN: 0
; COMPUTE_PGM_RSRC2:TGID_Z_EN: 0
; COMPUTE_PGM_RSRC2:TIDIG_COMP_CNT: 0
; COMPUTE_PGM_RSRC3_GFX90A:ACCUM_OFFSET: 4
; COMPUTE_PGM_RSRC3_GFX90A:TG_SPLIT: 0
	.section	.text._ZN2at6native12_GLOBAL__N_144conv_depthwise3d_cuda_backward_weight_kernelIN3c104HalfEfLi2ELi2EEEvN5torch10headeronly6detail27GenericPackedTensorAccessorINS7_14TensorAccessorINS3_8ArrayRefIlEEKT_Lm4ENS6_16DefaultPtrTraitsEiEENS_6detail16IndexBoundsCheckILm5EiEESD_Lm5ESE_iEESJ_NS8_INS9_ISB_SC_Lm4ESE_iEESI_SC_Lm5ESE_iEEiiiiiiiii,"axG",@progbits,_ZN2at6native12_GLOBAL__N_144conv_depthwise3d_cuda_backward_weight_kernelIN3c104HalfEfLi2ELi2EEEvN5torch10headeronly6detail27GenericPackedTensorAccessorINS7_14TensorAccessorINS3_8ArrayRefIlEEKT_Lm4ENS6_16DefaultPtrTraitsEiEENS_6detail16IndexBoundsCheckILm5EiEESD_Lm5ESE_iEESJ_NS8_INS9_ISB_SC_Lm4ESE_iEESI_SC_Lm5ESE_iEEiiiiiiiii,comdat
	.globl	_ZN2at6native12_GLOBAL__N_144conv_depthwise3d_cuda_backward_weight_kernelIN3c104HalfEfLi2ELi2EEEvN5torch10headeronly6detail27GenericPackedTensorAccessorINS7_14TensorAccessorINS3_8ArrayRefIlEEKT_Lm4ENS6_16DefaultPtrTraitsEiEENS_6detail16IndexBoundsCheckILm5EiEESD_Lm5ESE_iEESJ_NS8_INS9_ISB_SC_Lm4ESE_iEESI_SC_Lm5ESE_iEEiiiiiiiii ; -- Begin function _ZN2at6native12_GLOBAL__N_144conv_depthwise3d_cuda_backward_weight_kernelIN3c104HalfEfLi2ELi2EEEvN5torch10headeronly6detail27GenericPackedTensorAccessorINS7_14TensorAccessorINS3_8ArrayRefIlEEKT_Lm4ENS6_16DefaultPtrTraitsEiEENS_6detail16IndexBoundsCheckILm5EiEESD_Lm5ESE_iEESJ_NS8_INS9_ISB_SC_Lm4ESE_iEESI_SC_Lm5ESE_iEEiiiiiiiii
	.p2align	8
	.type	_ZN2at6native12_GLOBAL__N_144conv_depthwise3d_cuda_backward_weight_kernelIN3c104HalfEfLi2ELi2EEEvN5torch10headeronly6detail27GenericPackedTensorAccessorINS7_14TensorAccessorINS3_8ArrayRefIlEEKT_Lm4ENS6_16DefaultPtrTraitsEiEENS_6detail16IndexBoundsCheckILm5EiEESD_Lm5ESE_iEESJ_NS8_INS9_ISB_SC_Lm4ESE_iEESI_SC_Lm5ESE_iEEiiiiiiiii,@function
_ZN2at6native12_GLOBAL__N_144conv_depthwise3d_cuda_backward_weight_kernelIN3c104HalfEfLi2ELi2EEEvN5torch10headeronly6detail27GenericPackedTensorAccessorINS7_14TensorAccessorINS3_8ArrayRefIlEEKT_Lm4ENS6_16DefaultPtrTraitsEiEENS_6detail16IndexBoundsCheckILm5EiEESD_Lm5ESE_iEESJ_NS8_INS9_ISB_SC_Lm4ESE_iEESI_SC_Lm5ESE_iEEiiiiiiiii: ; @_ZN2at6native12_GLOBAL__N_144conv_depthwise3d_cuda_backward_weight_kernelIN3c104HalfEfLi2ELi2EEEvN5torch10headeronly6detail27GenericPackedTensorAccessorINS7_14TensorAccessorINS3_8ArrayRefIlEEKT_Lm4ENS6_16DefaultPtrTraitsEiEENS_6detail16IndexBoundsCheckILm5EiEESD_Lm5ESE_iEESJ_NS8_INS9_ISB_SC_Lm4ESE_iEESI_SC_Lm5ESE_iEEiiiiiiiii
; %bb.0:
	s_load_dwordx4 s[4:7], s[0:1], 0x70
	s_add_u32 s20, s0, 0x60
	s_addc_u32 s21, s1, 0
	s_load_dwordx4 s[12:15], s[0:1], 0x3c
	s_load_dwordx4 s[16:19], s[0:1], 0xc
	s_waitcnt lgkmcnt(0)
	v_cvt_f32_u32_e32 v1, s6
	v_cvt_f32_u32_e32 v2, s5
	s_sub_i32 s3, 0, s6
	v_rcp_iflag_f32_e32 v1, v1
	v_rcp_iflag_f32_e32 v2, v2
	v_mul_f32_e32 v1, 0x4f7ffffe, v1
	v_cvt_u32_f32_e32 v1, v1
	v_mul_f32_e32 v2, 0x4f7ffffe, v2
	v_cvt_u32_f32_e32 v2, v2
	v_readfirstlane_b32 s8, v1
	s_mul_i32 s3, s3, s8
	s_mul_hi_u32 s3, s8, s3
	s_add_i32 s8, s8, s3
	s_mul_hi_u32 s3, s2, s8
	s_mul_i32 s8, s3, s6
	s_sub_i32 s8, s2, s8
	s_add_i32 s10, s3, 1
	s_sub_i32 s11, s8, s6
	s_cmp_ge_u32 s8, s6
	s_cselect_b32 s3, s10, s3
	s_cselect_b32 s8, s11, s8
	s_add_i32 s10, s3, 1
	s_cmp_ge_u32 s8, s6
	v_cvt_f32_u32_e32 v1, s4
	v_readfirstlane_b32 s9, v2
	s_cselect_b32 s3, s10, s3
	s_sub_i32 s8, 0, s5
	s_mul_i32 s8, s8, s9
	s_mul_hi_u32 s8, s9, s8
	s_add_i32 s9, s9, s8
	v_rcp_iflag_f32_e32 v1, v1
	s_mul_hi_u32 s8, s3, s9
	s_mul_i32 s9, s8, s5
	s_sub_i32 s9, s3, s9
	s_add_i32 s10, s8, 1
	s_sub_i32 s11, s9, s5
	v_mul_f32_e32 v1, 0x4f7ffffe, v1
	s_cmp_ge_u32 s9, s5
	v_cvt_u32_f32_e32 v1, v1
	s_cselect_b32 s8, s10, s8
	s_cselect_b32 s9, s11, s9
	s_add_i32 s10, s8, 1
	s_cmp_ge_u32 s9, s5
	s_cselect_b32 s22, s10, s8
	s_sub_i32 s8, 0, s4
	v_readfirstlane_b32 s9, v1
	s_mul_i32 s8, s8, s9
	s_mul_hi_u32 s8, s9, s8
	s_add_i32 s9, s9, s8
	s_mul_hi_u32 s8, s22, s9
	s_mul_i32 s9, s8, s4
	s_sub_i32 s9, s22, s9
	s_add_i32 s10, s8, 1
	s_sub_i32 s11, s9, s4
	s_cmp_ge_u32 s9, s4
	s_cselect_b32 s8, s10, s8
	s_cselect_b32 s9, s11, s9
	s_add_i32 s10, s8, 1
	s_cmp_ge_u32 s9, s4
	s_cselect_b32 s33, s10, s8
	s_abs_i32 s8, s12
	v_cvt_f32_u32_e32 v1, s8
	s_xor_b32 s9, s16, s12
	s_sub_i32 s11, 0, s8
	s_abs_i32 s10, s16
	v_rcp_iflag_f32_e32 v1, v1
	s_ashr_i32 s9, s9, 31
	v_mul_f32_e32 v1, 0x4f7ffffe, v1
	v_cvt_u32_f32_e32 v1, v1
	s_nop 0
	v_readfirstlane_b32 s12, v1
	s_mul_i32 s11, s11, s12
	s_mul_hi_u32 s11, s12, s11
	s_add_i32 s12, s12, s11
	s_mul_hi_u32 s11, s10, s12
	s_mul_i32 s12, s11, s8
	s_sub_i32 s10, s10, s12
	s_add_i32 s12, s11, 1
	s_sub_i32 s16, s10, s8
	s_cmp_ge_u32 s10, s8
	s_cselect_b32 s11, s12, s11
	s_cselect_b32 s10, s16, s10
	s_add_i32 s12, s11, 1
	s_cmp_ge_u32 s10, s8
	s_cselect_b32 s8, s12, s11
	s_xor_b32 s8, s8, s9
	s_sub_i32 s24, s8, s9
	s_abs_i32 s23, s24
	v_cvt_f32_u32_e32 v1, s23
	s_load_dword s8, s[0:1], 0x68
	v_rcp_iflag_f32_e32 v1, v1
	s_waitcnt lgkmcnt(0)
	s_cmp_ge_i32 s33, s8
	v_mul_f32_e32 v1, 0x4f7ffffe, v1
	v_cvt_u32_f32_e32 v1, v1
	s_nop 0
	v_readfirstlane_b32 s25, v1
	s_cbranch_scc1 .LBB39_28
; %bb.1:
	s_mul_i32 s6, s3, s6
	s_sub_i32 s6, s2, s6
	s_mul_i32 s2, s22, s5
	s_load_dwordx2 s[34:35], s[20:21], 0x0
	s_load_dwordx4 s[8:11], s[20:21], 0x24
	s_sub_i32 s12, s3, s2
	s_load_dword s2, s[0:1], 0xc4
	s_load_dword s51, s[0:1], 0x38
	s_mul_i32 s3, s33, s4
	v_lshrrev_b32_e32 v1, 6, v0
	s_sub_i32 s16, s22, s3
	s_waitcnt lgkmcnt(0)
	s_and_b32 s50, s2, 0xffff
	s_mul_i32 s51, s51, s17
	v_cmp_gt_i32_e32 vcc, s51, v1
	v_mov_b32_e32 v2, 0
	s_and_saveexec_b64 s[36:37], vcc
	s_cbranch_execz .LBB39_23
; %bb.2:
	s_sub_i32 s5, 0, s23
	s_mul_i32 s5, s5, s25
	s_mul_hi_u32 s5, s25, s5
	s_abs_i32 s4, s33
	s_add_i32 s25, s25, s5
	s_ashr_i32 s2, s33, 31
	s_ashr_i32 s3, s24, 31
	s_mul_hi_u32 s5, s4, s25
	s_xor_b32 s20, s2, s3
	s_mul_i32 s2, s5, s23
	s_sub_i32 s2, s4, s2
	s_lshr_b32 s52, s50, 6
	s_add_i32 s3, s5, 1
	s_sub_i32 s4, s2, s23
	s_cmp_ge_u32 s2, s23
	s_cselect_b32 s3, s3, s5
	s_cselect_b32 s2, s4, s2
	s_add_i32 s4, s3, 1
	s_cmp_ge_u32 s2, s23
	s_cselect_b32 s4, s4, s3
	s_abs_i32 s5, s17
	v_cvt_f32_u32_e32 v3, s5
	s_xor_b32 s4, s4, s20
	s_sub_i32 s42, s4, s20
	s_sub_i32 s4, 0, s5
	v_rcp_iflag_f32_e32 v3, v3
	s_load_dwordx4 s[28:31], s[0:1], 0x9c
	s_load_dwordx2 s[2:3], s[0:1], 0xac
	s_ashr_i32 s24, s17, 31
	v_and_b32_e32 v2, 63, v0
	v_mul_f32_e32 v3, 0x4f7ffffe, v3
	v_cvt_u32_f32_e32 v3, v3
	v_mul_lo_u32 v4, s4, v3
	v_mul_hi_u32 v4, v3, v4
	v_add_u32_e32 v3, v3, v4
	v_mul_hi_u32 v3, v1, v3
	v_mul_lo_u32 v4, v3, s5
	v_sub_u32_e32 v4, v1, v4
	v_add_u32_e32 v5, 1, v3
	v_cmp_le_u32_e32 vcc, s5, v4
	s_nop 1
	v_cndmask_b32_e32 v3, v3, v5, vcc
	v_subrev_u32_e32 v5, s5, v4
	v_cndmask_b32_e32 v4, v4, v5, vcc
	v_add_u32_e32 v5, 1, v3
	v_cmp_le_u32_e32 vcc, s5, v4
	s_load_dwordx2 s[4:5], s[0:1], 0x0
	s_load_dwordx4 s[20:23], s[0:1], 0x1c
	v_cndmask_b32_e32 v3, v3, v5, vcc
	v_xor_b32_e32 v3, s24, v3
	v_subrev_u32_e32 v9, s24, v3
	s_load_dwordx2 s[40:41], s[0:1], 0x30
	s_load_dwordx4 s[24:27], s[0:1], 0x4c
	s_waitcnt lgkmcnt(0)
	s_mul_i32 s38, s21, s33
	s_mul_i32 s23, s16, s31
	s_ashr_i32 s39, s38, 31
	s_sub_i32 s23, s23, s28
	s_lshl_b64 s[0:1], s[38:39], 1
	s_add_u32 s38, s4, s0
	s_mul_i32 s0, s25, s42
	s_addc_u32 s39, s5, s1
	s_ashr_i32 s1, s0, 31
	s_lshl_b64 s[0:1], s[0:1], 1
	s_add_u32 s40, s40, s0
	s_addc_u32 s41, s41, s1
	s_abs_i32 s0, s19
	v_cvt_f32_u32_e32 v4, s0
	s_mul_i32 s1, s6, s3
	s_sub_i32 s21, s1, s30
	s_mul_i32 s1, s12, s2
	v_rcp_iflag_f32_e32 v4, v4
	s_sub_i32 s2, 0, s0
	s_sub_i32 s25, s1, s29
	s_ashr_i32 s1, s19, 31
	v_mul_f32_e32 v4, 0x4f7ffffe, v4
	v_cvt_u32_f32_e32 v4, v4
	v_mul_lo_u32 v3, v9, s17
	v_sub_u32_e32 v10, v1, v3
	v_mov_b32_e32 v3, 0
	v_mul_lo_u32 v5, s2, v4
	v_mul_hi_u32 v5, v4, v5
	v_add_u32_e32 v4, v4, v5
	v_mul_hi_u32 v4, v2, v4
	v_mul_lo_u32 v5, v4, s0
	v_sub_u32_e32 v5, v2, v5
	v_add_u32_e32 v6, 1, v4
	v_cmp_le_u32_e32 vcc, s0, v5
	s_mov_b64 s[28:29], 0
	s_mov_b64 s[30:31], 0x80
	v_cndmask_b32_e32 v4, v4, v6, vcc
	v_subrev_u32_e32 v6, s0, v5
	v_cndmask_b32_e32 v5, v5, v6, vcc
	v_add_u32_e32 v6, 1, v4
	v_cmp_le_u32_e32 vcc, s0, v5
	v_mov_b32_e32 v13, v3
	s_nop 0
	v_cndmask_b32_e32 v4, v4, v6, vcc
	v_xor_b32_e32 v4, s1, v4
	v_subrev_u32_e32 v11, s1, v4
	v_mul_lo_u32 v4, v11, s19
	v_cmp_gt_i32_e32 vcc, s18, v11
	v_sub_u32_e32 v12, v2, v4
	v_lshlrev_b32_e32 v2, 1, v2
	s_branch .LBB39_6
.LBB39_3:                               ;   in Loop: Header=BB39_6 Depth=1
	s_or_b64 exec, exec, s[46:47]
.LBB39_4:                               ;   in Loop: Header=BB39_6 Depth=1
	s_or_b64 exec, exec, s[44:45]
.LBB39_5:                               ;   in Loop: Header=BB39_6 Depth=1
	s_or_b64 exec, exec, s[42:43]
	v_add_u32_e32 v1, s52, v1
	v_cmp_le_i32_e64 s[0:1], s51, v1
	s_or_b64 s[28:29], s[0:1], s[28:29]
	v_add_u32_e32 v10, s52, v10
	s_andn2_b64 exec, exec, s[28:29]
	s_cbranch_execz .LBB39_22
.LBB39_6:                               ; =>This Loop Header: Depth=1
                                        ;     Child Loop BB39_8 Depth 2
                                        ;     Child Loop BB39_14 Depth 2
                                        ;       Child Loop BB39_20 Depth 3
	v_cmp_le_i32_e64 s[0:1], s17, v10
	s_and_saveexec_b64 s[2:3], s[0:1]
	s_cbranch_execz .LBB39_10
; %bb.7:                                ;   in Loop: Header=BB39_6 Depth=1
	s_mov_b64 s[4:5], 0
.LBB39_8:                               ;   Parent Loop BB39_6 Depth=1
                                        ; =>  This Inner Loop Header: Depth=2
	v_subrev_u32_e32 v10, s17, v10
	v_cmp_gt_i32_e64 s[0:1], s17, v10
	s_or_b64 s[4:5], s[0:1], s[4:5]
	v_add_u32_e32 v9, 1, v9
	s_andn2_b64 exec, exec, s[4:5]
	s_cbranch_execnz .LBB39_8
; %bb.9:                                ;   in Loop: Header=BB39_6 Depth=1
	s_or_b64 exec, exec, s[4:5]
.LBB39_10:                              ;   in Loop: Header=BB39_6 Depth=1
	s_or_b64 exec, exec, s[2:3]
	v_mul_lo_u32 v4, v10, s11
	v_add_u32_e32 v4, s23, v4
	v_cmp_lt_i32_e64 s[0:1], -1, v4
	v_cmp_gt_i32_e64 s[2:3], s13, v4
	s_and_b64 s[0:1], s[0:1], s[2:3]
	s_and_saveexec_b64 s[42:43], s[0:1]
	s_cbranch_execz .LBB39_5
; %bb.11:                               ;   in Loop: Header=BB39_6 Depth=1
	s_and_saveexec_b64 s[44:45], vcc
	s_cbranch_execz .LBB39_4
; %bb.12:                               ;   in Loop: Header=BB39_6 Depth=1
	v_mul_lo_u32 v6, s24, v9
	v_ashrrev_i32_e32 v7, 31, v6
	v_mul_lo_u32 v4, s26, v4
	v_lshl_add_u64 v[6:7], v[6:7], 1, s[40:41]
	v_ashrrev_i32_e32 v5, 31, v4
	v_lshl_add_u64 v[4:5], v[4:5], 1, v[6:7]
	v_mul_lo_u32 v6, s20, v9
	v_ashrrev_i32_e32 v7, 31, v6
	v_mul_lo_u32 v14, s22, v10
	v_lshl_add_u64 v[6:7], v[6:7], 1, s[38:39]
	v_ashrrev_i32_e32 v15, 31, v14
	v_lshl_add_u64 v[6:7], v[14:15], 1, v[6:7]
	v_lshl_add_u64 v[6:7], v[6:7], 0, v[2:3]
	s_mov_b64 s[46:47], 0
	v_mov_b32_e32 v14, v12
	v_mov_b32_e32 v15, v11
	s_branch .LBB39_14
.LBB39_13:                              ;   in Loop: Header=BB39_14 Depth=2
	s_or_b64 exec, exec, s[2:3]
	v_cmp_le_i32_e64 s[0:1], s18, v15
	v_lshl_add_u64 v[6:7], v[6:7], 0, s[30:31]
	s_or_b64 s[46:47], s[0:1], s[46:47]
	s_waitcnt vmcnt(0)
	v_fma_mix_f32 v13, v17, v16, v13 op_sel_hi:[0,1,0]
	s_andn2_b64 exec, exec, s[46:47]
	s_cbranch_execz .LBB39_3
.LBB39_14:                              ;   Parent Loop BB39_6 Depth=1
                                        ; =>  This Loop Header: Depth=2
                                        ;       Child Loop BB39_20 Depth 3
	global_load_ushort v16, v[6:7], off
	v_lshl_add_u32 v8, v14, 1, s21
	v_cmp_lt_i32_e64 s[0:1], -1, v8
	v_mov_b32_e32 v17, 0
	s_and_saveexec_b64 s[48:49], s[0:1]
	s_cbranch_execz .LBB39_18
; %bb.15:                               ;   in Loop: Header=BB39_14 Depth=2
	v_lshl_add_u32 v18, v15, 1, s25
	v_cmp_gt_i32_e64 s[0:1], s15, v8
	v_cmp_gt_i32_e64 s[4:5], s14, v18
	v_cmp_lt_i32_e64 s[2:3], -1, v18
	s_and_b64 s[0:1], s[0:1], s[4:5]
	s_and_b64 s[2:3], s[0:1], s[2:3]
	v_mov_b32_e32 v17, 0
	s_and_saveexec_b64 s[0:1], s[2:3]
	s_cbranch_execz .LBB39_17
; %bb.16:                               ;   in Loop: Header=BB39_14 Depth=2
	v_mad_u64_u32 v[18:19], s[2:3], v18, s15, v[8:9]
	v_mov_b32_e32 v19, v3
	v_lshl_add_u64 v[18:19], v[18:19], 1, v[4:5]
	global_load_ushort v8, v[18:19], off
	s_waitcnt vmcnt(0)
	v_cvt_f32_f16_e32 v17, v8
.LBB39_17:                              ;   in Loop: Header=BB39_14 Depth=2
	s_or_b64 exec, exec, s[0:1]
.LBB39_18:                              ;   in Loop: Header=BB39_14 Depth=2
	s_or_b64 exec, exec, s[48:49]
	v_add_u32_e32 v14, 64, v14
	v_cmp_le_i32_e64 s[0:1], s19, v14
	s_and_saveexec_b64 s[2:3], s[0:1]
	s_cbranch_execz .LBB39_13
; %bb.19:                               ;   in Loop: Header=BB39_14 Depth=2
	s_mov_b64 s[4:5], 0
.LBB39_20:                              ;   Parent Loop BB39_6 Depth=1
                                        ;     Parent Loop BB39_14 Depth=2
                                        ; =>    This Inner Loop Header: Depth=3
	v_subrev_u32_e32 v14, s19, v14
	v_cmp_gt_i32_e64 s[0:1], s19, v14
	s_or_b64 s[4:5], s[0:1], s[4:5]
	v_add_u32_e32 v15, 1, v15
	s_andn2_b64 exec, exec, s[4:5]
	s_cbranch_execnz .LBB39_20
; %bb.21:                               ;   in Loop: Header=BB39_14 Depth=2
	s_or_b64 exec, exec, s[4:5]
	s_branch .LBB39_13
.LBB39_22:
	s_or_b64 exec, exec, s[28:29]
	v_cvt_f16_f32_e32 v2, v13
.LBB39_23:
	s_or_b64 exec, exec, s[36:37]
	s_bcnt1_i32_b32 s0, s50
	v_lshl_add_u32 v1, v0, 1, 0
	s_cmp_lg_u32 s0, 1
	s_mov_b64 s[0:1], -1
	ds_write_b16 v1, v2
	s_waitcnt lgkmcnt(0)
	s_barrier
	s_cbranch_scc1 .LBB39_32
; %bb.24:
	s_andn2_b64 vcc, exec, s[0:1]
	s_cbranch_vccnz .LBB39_28
.LBB39_25:
	s_cmp_lt_u32 s50, 2
	s_cbranch_scc0 .LBB39_30
.LBB39_26:
	v_cmp_eq_u32_e32 vcc, 0, v0
	s_and_saveexec_b64 s[0:1], vcc
	s_cbranch_execz .LBB39_28
; %bb.27:
	s_mul_i32 s0, s7, s33
	s_ashr_i32 s1, s0, 31
	s_lshl_b64 s[0:1], s[0:1], 1
	s_add_u32 s2, s34, s0
	s_mul_i32 s0, s8, s16
	s_addc_u32 s3, s35, s1
	s_ashr_i32 s1, s0, 31
	s_lshl_b64 s[0:1], s[0:1], 1
	s_add_u32 s2, s2, s0
	s_mul_i32 s0, s9, s12
	s_addc_u32 s3, s3, s1
	s_ashr_i32 s1, s0, 31
	s_lshl_b64 s[0:1], s[0:1], 1
	v_mov_b32_e32 v0, 0
	s_add_u32 s2, s2, s0
	s_mul_i32 s0, s10, s6
	ds_read_u16 v1, v0
	s_addc_u32 s3, s3, s1
	s_ashr_i32 s1, s0, 31
	s_lshl_b64 s[0:1], s[0:1], 1
	s_add_u32 s0, s2, s0
	s_addc_u32 s1, s3, s1
	s_waitcnt lgkmcnt(0)
	global_store_short v0, v1, s[0:1]
.LBB39_28:
	s_endpgm
.LBB39_29:                              ;   in Loop: Header=BB39_30 Depth=1
	s_or_b64 exec, exec, s[0:1]
	s_cmp_lt_u32 s50, 4
	s_mov_b32 s50, s2
	s_waitcnt lgkmcnt(0)
	s_barrier
	s_cbranch_scc1 .LBB39_26
.LBB39_30:                              ; =>This Inner Loop Header: Depth=1
	s_lshr_b32 s2, s50, 1
	v_cmp_gt_u32_e32 vcc, s2, v0
	s_and_saveexec_b64 s[0:1], vcc
	s_cbranch_execz .LBB39_29
; %bb.31:                               ;   in Loop: Header=BB39_30 Depth=1
	v_lshl_add_u32 v2, s2, 1, v1
	ds_read_u16 v2, v2
	ds_read_u16 v3, v1
	s_waitcnt lgkmcnt(0)
	v_add_f16_e32 v2, v2, v3
	ds_write_b16 v1, v2
	s_branch .LBB39_29
.LBB39_32:
	s_trap 2
	; divergent unreachable
	s_cbranch_execz .LBB39_25
	s_branch .LBB39_28
	.section	.rodata,"a",@progbits
	.p2align	6, 0x0
	.amdhsa_kernel _ZN2at6native12_GLOBAL__N_144conv_depthwise3d_cuda_backward_weight_kernelIN3c104HalfEfLi2ELi2EEEvN5torch10headeronly6detail27GenericPackedTensorAccessorINS7_14TensorAccessorINS3_8ArrayRefIlEEKT_Lm4ENS6_16DefaultPtrTraitsEiEENS_6detail16IndexBoundsCheckILm5EiEESD_Lm5ESE_iEESJ_NS8_INS9_ISB_SC_Lm4ESE_iEESI_SC_Lm5ESE_iEEiiiiiiiii
		.amdhsa_group_segment_fixed_size 0
		.amdhsa_private_segment_fixed_size 0
		.amdhsa_kernarg_size 440
		.amdhsa_user_sgpr_count 2
		.amdhsa_user_sgpr_dispatch_ptr 0
		.amdhsa_user_sgpr_queue_ptr 0
		.amdhsa_user_sgpr_kernarg_segment_ptr 1
		.amdhsa_user_sgpr_dispatch_id 0
		.amdhsa_user_sgpr_kernarg_preload_length 0
		.amdhsa_user_sgpr_kernarg_preload_offset 0
		.amdhsa_user_sgpr_private_segment_size 0
		.amdhsa_uses_dynamic_stack 0
		.amdhsa_enable_private_segment 0
		.amdhsa_system_sgpr_workgroup_id_x 1
		.amdhsa_system_sgpr_workgroup_id_y 0
		.amdhsa_system_sgpr_workgroup_id_z 0
		.amdhsa_system_sgpr_workgroup_info 0
		.amdhsa_system_vgpr_workitem_id 0
		.amdhsa_next_free_vgpr 20
		.amdhsa_next_free_sgpr 53
		.amdhsa_accum_offset 20
		.amdhsa_reserve_vcc 1
		.amdhsa_float_round_mode_32 0
		.amdhsa_float_round_mode_16_64 0
		.amdhsa_float_denorm_mode_32 3
		.amdhsa_float_denorm_mode_16_64 3
		.amdhsa_dx10_clamp 1
		.amdhsa_ieee_mode 1
		.amdhsa_fp16_overflow 0
		.amdhsa_tg_split 0
		.amdhsa_exception_fp_ieee_invalid_op 0
		.amdhsa_exception_fp_denorm_src 0
		.amdhsa_exception_fp_ieee_div_zero 0
		.amdhsa_exception_fp_ieee_overflow 0
		.amdhsa_exception_fp_ieee_underflow 0
		.amdhsa_exception_fp_ieee_inexact 0
		.amdhsa_exception_int_div_zero 0
	.end_amdhsa_kernel
	.section	.text._ZN2at6native12_GLOBAL__N_144conv_depthwise3d_cuda_backward_weight_kernelIN3c104HalfEfLi2ELi2EEEvN5torch10headeronly6detail27GenericPackedTensorAccessorINS7_14TensorAccessorINS3_8ArrayRefIlEEKT_Lm4ENS6_16DefaultPtrTraitsEiEENS_6detail16IndexBoundsCheckILm5EiEESD_Lm5ESE_iEESJ_NS8_INS9_ISB_SC_Lm4ESE_iEESI_SC_Lm5ESE_iEEiiiiiiiii,"axG",@progbits,_ZN2at6native12_GLOBAL__N_144conv_depthwise3d_cuda_backward_weight_kernelIN3c104HalfEfLi2ELi2EEEvN5torch10headeronly6detail27GenericPackedTensorAccessorINS7_14TensorAccessorINS3_8ArrayRefIlEEKT_Lm4ENS6_16DefaultPtrTraitsEiEENS_6detail16IndexBoundsCheckILm5EiEESD_Lm5ESE_iEESJ_NS8_INS9_ISB_SC_Lm4ESE_iEESI_SC_Lm5ESE_iEEiiiiiiiii,comdat
.Lfunc_end39:
	.size	_ZN2at6native12_GLOBAL__N_144conv_depthwise3d_cuda_backward_weight_kernelIN3c104HalfEfLi2ELi2EEEvN5torch10headeronly6detail27GenericPackedTensorAccessorINS7_14TensorAccessorINS3_8ArrayRefIlEEKT_Lm4ENS6_16DefaultPtrTraitsEiEENS_6detail16IndexBoundsCheckILm5EiEESD_Lm5ESE_iEESJ_NS8_INS9_ISB_SC_Lm4ESE_iEESI_SC_Lm5ESE_iEEiiiiiiiii, .Lfunc_end39-_ZN2at6native12_GLOBAL__N_144conv_depthwise3d_cuda_backward_weight_kernelIN3c104HalfEfLi2ELi2EEEvN5torch10headeronly6detail27GenericPackedTensorAccessorINS7_14TensorAccessorINS3_8ArrayRefIlEEKT_Lm4ENS6_16DefaultPtrTraitsEiEENS_6detail16IndexBoundsCheckILm5EiEESD_Lm5ESE_iEESJ_NS8_INS9_ISB_SC_Lm4ESE_iEESI_SC_Lm5ESE_iEEiiiiiiiii
                                        ; -- End function
	.set _ZN2at6native12_GLOBAL__N_144conv_depthwise3d_cuda_backward_weight_kernelIN3c104HalfEfLi2ELi2EEEvN5torch10headeronly6detail27GenericPackedTensorAccessorINS7_14TensorAccessorINS3_8ArrayRefIlEEKT_Lm4ENS6_16DefaultPtrTraitsEiEENS_6detail16IndexBoundsCheckILm5EiEESD_Lm5ESE_iEESJ_NS8_INS9_ISB_SC_Lm4ESE_iEESI_SC_Lm5ESE_iEEiiiiiiiii.num_vgpr, 20
	.set _ZN2at6native12_GLOBAL__N_144conv_depthwise3d_cuda_backward_weight_kernelIN3c104HalfEfLi2ELi2EEEvN5torch10headeronly6detail27GenericPackedTensorAccessorINS7_14TensorAccessorINS3_8ArrayRefIlEEKT_Lm4ENS6_16DefaultPtrTraitsEiEENS_6detail16IndexBoundsCheckILm5EiEESD_Lm5ESE_iEESJ_NS8_INS9_ISB_SC_Lm4ESE_iEESI_SC_Lm5ESE_iEEiiiiiiiii.num_agpr, 0
	.set _ZN2at6native12_GLOBAL__N_144conv_depthwise3d_cuda_backward_weight_kernelIN3c104HalfEfLi2ELi2EEEvN5torch10headeronly6detail27GenericPackedTensorAccessorINS7_14TensorAccessorINS3_8ArrayRefIlEEKT_Lm4ENS6_16DefaultPtrTraitsEiEENS_6detail16IndexBoundsCheckILm5EiEESD_Lm5ESE_iEESJ_NS8_INS9_ISB_SC_Lm4ESE_iEESI_SC_Lm5ESE_iEEiiiiiiiii.numbered_sgpr, 53
	.set _ZN2at6native12_GLOBAL__N_144conv_depthwise3d_cuda_backward_weight_kernelIN3c104HalfEfLi2ELi2EEEvN5torch10headeronly6detail27GenericPackedTensorAccessorINS7_14TensorAccessorINS3_8ArrayRefIlEEKT_Lm4ENS6_16DefaultPtrTraitsEiEENS_6detail16IndexBoundsCheckILm5EiEESD_Lm5ESE_iEESJ_NS8_INS9_ISB_SC_Lm4ESE_iEESI_SC_Lm5ESE_iEEiiiiiiiii.num_named_barrier, 0
	.set _ZN2at6native12_GLOBAL__N_144conv_depthwise3d_cuda_backward_weight_kernelIN3c104HalfEfLi2ELi2EEEvN5torch10headeronly6detail27GenericPackedTensorAccessorINS7_14TensorAccessorINS3_8ArrayRefIlEEKT_Lm4ENS6_16DefaultPtrTraitsEiEENS_6detail16IndexBoundsCheckILm5EiEESD_Lm5ESE_iEESJ_NS8_INS9_ISB_SC_Lm4ESE_iEESI_SC_Lm5ESE_iEEiiiiiiiii.private_seg_size, 0
	.set _ZN2at6native12_GLOBAL__N_144conv_depthwise3d_cuda_backward_weight_kernelIN3c104HalfEfLi2ELi2EEEvN5torch10headeronly6detail27GenericPackedTensorAccessorINS7_14TensorAccessorINS3_8ArrayRefIlEEKT_Lm4ENS6_16DefaultPtrTraitsEiEENS_6detail16IndexBoundsCheckILm5EiEESD_Lm5ESE_iEESJ_NS8_INS9_ISB_SC_Lm4ESE_iEESI_SC_Lm5ESE_iEEiiiiiiiii.uses_vcc, 1
	.set _ZN2at6native12_GLOBAL__N_144conv_depthwise3d_cuda_backward_weight_kernelIN3c104HalfEfLi2ELi2EEEvN5torch10headeronly6detail27GenericPackedTensorAccessorINS7_14TensorAccessorINS3_8ArrayRefIlEEKT_Lm4ENS6_16DefaultPtrTraitsEiEENS_6detail16IndexBoundsCheckILm5EiEESD_Lm5ESE_iEESJ_NS8_INS9_ISB_SC_Lm4ESE_iEESI_SC_Lm5ESE_iEEiiiiiiiii.uses_flat_scratch, 0
	.set _ZN2at6native12_GLOBAL__N_144conv_depthwise3d_cuda_backward_weight_kernelIN3c104HalfEfLi2ELi2EEEvN5torch10headeronly6detail27GenericPackedTensorAccessorINS7_14TensorAccessorINS3_8ArrayRefIlEEKT_Lm4ENS6_16DefaultPtrTraitsEiEENS_6detail16IndexBoundsCheckILm5EiEESD_Lm5ESE_iEESJ_NS8_INS9_ISB_SC_Lm4ESE_iEESI_SC_Lm5ESE_iEEiiiiiiiii.has_dyn_sized_stack, 0
	.set _ZN2at6native12_GLOBAL__N_144conv_depthwise3d_cuda_backward_weight_kernelIN3c104HalfEfLi2ELi2EEEvN5torch10headeronly6detail27GenericPackedTensorAccessorINS7_14TensorAccessorINS3_8ArrayRefIlEEKT_Lm4ENS6_16DefaultPtrTraitsEiEENS_6detail16IndexBoundsCheckILm5EiEESD_Lm5ESE_iEESJ_NS8_INS9_ISB_SC_Lm4ESE_iEESI_SC_Lm5ESE_iEEiiiiiiiii.has_recursion, 0
	.set _ZN2at6native12_GLOBAL__N_144conv_depthwise3d_cuda_backward_weight_kernelIN3c104HalfEfLi2ELi2EEEvN5torch10headeronly6detail27GenericPackedTensorAccessorINS7_14TensorAccessorINS3_8ArrayRefIlEEKT_Lm4ENS6_16DefaultPtrTraitsEiEENS_6detail16IndexBoundsCheckILm5EiEESD_Lm5ESE_iEESJ_NS8_INS9_ISB_SC_Lm4ESE_iEESI_SC_Lm5ESE_iEEiiiiiiiii.has_indirect_call, 0
	.section	.AMDGPU.csdata,"",@progbits
; Kernel info:
; codeLenInByte = 1812
; TotalNumSgprs: 59
; NumVgprs: 20
; NumAgprs: 0
; TotalNumVgprs: 20
; ScratchSize: 0
; MemoryBound: 0
; FloatMode: 240
; IeeeMode: 1
; LDSByteSize: 0 bytes/workgroup (compile time only)
; SGPRBlocks: 7
; VGPRBlocks: 2
; NumSGPRsForWavesPerEU: 59
; NumVGPRsForWavesPerEU: 20
; AccumOffset: 20
; Occupancy: 8
; WaveLimiterHint : 1
; COMPUTE_PGM_RSRC2:SCRATCH_EN: 0
; COMPUTE_PGM_RSRC2:USER_SGPR: 2
; COMPUTE_PGM_RSRC2:TRAP_HANDLER: 0
; COMPUTE_PGM_RSRC2:TGID_X_EN: 1
; COMPUTE_PGM_RSRC2:TGID_Y_EN: 0
; COMPUTE_PGM_RSRC2:TGID_Z_EN: 0
; COMPUTE_PGM_RSRC2:TIDIG_COMP_CNT: 0
; COMPUTE_PGM_RSRC3_GFX90A:ACCUM_OFFSET: 4
; COMPUTE_PGM_RSRC3_GFX90A:TG_SPLIT: 0
	.section	.text._ZN2at6native12_GLOBAL__N_144conv_depthwise3d_cuda_backward_weight_kernelIN3c104HalfEfLin1ELin1EEEvN5torch10headeronly6detail27GenericPackedTensorAccessorINS7_14TensorAccessorINS3_8ArrayRefIlEEKT_Lm4ENS6_16DefaultPtrTraitsEiEENS_6detail16IndexBoundsCheckILm5EiEESD_Lm5ESE_iEESJ_NS8_INS9_ISB_SC_Lm4ESE_iEESI_SC_Lm5ESE_iEEiiiiiiiii,"axG",@progbits,_ZN2at6native12_GLOBAL__N_144conv_depthwise3d_cuda_backward_weight_kernelIN3c104HalfEfLin1ELin1EEEvN5torch10headeronly6detail27GenericPackedTensorAccessorINS7_14TensorAccessorINS3_8ArrayRefIlEEKT_Lm4ENS6_16DefaultPtrTraitsEiEENS_6detail16IndexBoundsCheckILm5EiEESD_Lm5ESE_iEESJ_NS8_INS9_ISB_SC_Lm4ESE_iEESI_SC_Lm5ESE_iEEiiiiiiiii,comdat
	.globl	_ZN2at6native12_GLOBAL__N_144conv_depthwise3d_cuda_backward_weight_kernelIN3c104HalfEfLin1ELin1EEEvN5torch10headeronly6detail27GenericPackedTensorAccessorINS7_14TensorAccessorINS3_8ArrayRefIlEEKT_Lm4ENS6_16DefaultPtrTraitsEiEENS_6detail16IndexBoundsCheckILm5EiEESD_Lm5ESE_iEESJ_NS8_INS9_ISB_SC_Lm4ESE_iEESI_SC_Lm5ESE_iEEiiiiiiiii ; -- Begin function _ZN2at6native12_GLOBAL__N_144conv_depthwise3d_cuda_backward_weight_kernelIN3c104HalfEfLin1ELin1EEEvN5torch10headeronly6detail27GenericPackedTensorAccessorINS7_14TensorAccessorINS3_8ArrayRefIlEEKT_Lm4ENS6_16DefaultPtrTraitsEiEENS_6detail16IndexBoundsCheckILm5EiEESD_Lm5ESE_iEESJ_NS8_INS9_ISB_SC_Lm4ESE_iEESI_SC_Lm5ESE_iEEiiiiiiiii
	.p2align	8
	.type	_ZN2at6native12_GLOBAL__N_144conv_depthwise3d_cuda_backward_weight_kernelIN3c104HalfEfLin1ELin1EEEvN5torch10headeronly6detail27GenericPackedTensorAccessorINS7_14TensorAccessorINS3_8ArrayRefIlEEKT_Lm4ENS6_16DefaultPtrTraitsEiEENS_6detail16IndexBoundsCheckILm5EiEESD_Lm5ESE_iEESJ_NS8_INS9_ISB_SC_Lm4ESE_iEESI_SC_Lm5ESE_iEEiiiiiiiii,@function
_ZN2at6native12_GLOBAL__N_144conv_depthwise3d_cuda_backward_weight_kernelIN3c104HalfEfLin1ELin1EEEvN5torch10headeronly6detail27GenericPackedTensorAccessorINS7_14TensorAccessorINS3_8ArrayRefIlEEKT_Lm4ENS6_16DefaultPtrTraitsEiEENS_6detail16IndexBoundsCheckILm5EiEESD_Lm5ESE_iEESJ_NS8_INS9_ISB_SC_Lm4ESE_iEESI_SC_Lm5ESE_iEEiiiiiiiii: ; @_ZN2at6native12_GLOBAL__N_144conv_depthwise3d_cuda_backward_weight_kernelIN3c104HalfEfLin1ELin1EEEvN5torch10headeronly6detail27GenericPackedTensorAccessorINS7_14TensorAccessorINS3_8ArrayRefIlEEKT_Lm4ENS6_16DefaultPtrTraitsEiEENS_6detail16IndexBoundsCheckILm5EiEESD_Lm5ESE_iEESJ_NS8_INS9_ISB_SC_Lm4ESE_iEESI_SC_Lm5ESE_iEEiiiiiiiii
; %bb.0:
	s_load_dwordx4 s[4:7], s[0:1], 0x70
	s_add_u32 s24, s0, 0x60
	s_addc_u32 s25, s1, 0
	s_load_dwordx4 s[16:19], s[0:1], 0x3c
	s_load_dwordx4 s[20:23], s[0:1], 0xc
	s_waitcnt lgkmcnt(0)
	v_cvt_f32_u32_e32 v1, s6
	v_cvt_f32_u32_e32 v2, s5
	s_sub_i32 s3, 0, s6
	v_rcp_iflag_f32_e32 v1, v1
	v_rcp_iflag_f32_e32 v2, v2
	v_mul_f32_e32 v1, 0x4f7ffffe, v1
	v_cvt_u32_f32_e32 v1, v1
	v_mul_f32_e32 v2, 0x4f7ffffe, v2
	v_cvt_u32_f32_e32 v2, v2
	v_readfirstlane_b32 s8, v1
	s_mul_i32 s3, s3, s8
	s_mul_hi_u32 s3, s8, s3
	s_add_i32 s8, s8, s3
	s_mul_hi_u32 s3, s2, s8
	s_mul_i32 s8, s3, s6
	s_sub_i32 s8, s2, s8
	s_add_i32 s10, s3, 1
	s_sub_i32 s11, s8, s6
	s_cmp_ge_u32 s8, s6
	s_cselect_b32 s3, s10, s3
	s_cselect_b32 s8, s11, s8
	s_add_i32 s10, s3, 1
	s_cmp_ge_u32 s8, s6
	v_cvt_f32_u32_e32 v1, s4
	v_readfirstlane_b32 s9, v2
	s_cselect_b32 s3, s10, s3
	s_sub_i32 s8, 0, s5
	s_mul_i32 s8, s8, s9
	s_mul_hi_u32 s8, s9, s8
	s_add_i32 s9, s9, s8
	v_rcp_iflag_f32_e32 v1, v1
	s_mul_hi_u32 s8, s3, s9
	s_mul_i32 s9, s8, s5
	s_sub_i32 s9, s3, s9
	s_add_i32 s10, s8, 1
	s_sub_i32 s11, s9, s5
	v_mul_f32_e32 v1, 0x4f7ffffe, v1
	s_cmp_ge_u32 s9, s5
	v_cvt_u32_f32_e32 v1, v1
	s_cselect_b32 s8, s10, s8
	s_cselect_b32 s9, s11, s9
	s_add_i32 s10, s8, 1
	s_cmp_ge_u32 s9, s5
	s_cselect_b32 s26, s10, s8
	s_sub_i32 s8, 0, s4
	v_readfirstlane_b32 s9, v1
	s_mul_i32 s8, s8, s9
	s_mul_hi_u32 s8, s9, s8
	s_add_i32 s9, s9, s8
	s_mul_hi_u32 s8, s26, s9
	s_mul_i32 s9, s8, s4
	s_sub_i32 s9, s26, s9
	s_add_i32 s10, s8, 1
	s_sub_i32 s11, s9, s4
	s_cmp_ge_u32 s9, s4
	s_cselect_b32 s8, s10, s8
	s_cselect_b32 s9, s11, s9
	s_add_i32 s10, s8, 1
	s_cmp_ge_u32 s9, s4
	s_cselect_b32 s33, s10, s8
	s_abs_i32 s8, s16
	v_cvt_f32_u32_e32 v1, s8
	s_sub_i32 s11, 0, s8
	s_abs_i32 s10, s20
	s_xor_b32 s9, s20, s16
	v_rcp_iflag_f32_e32 v1, v1
	s_ashr_i32 s9, s9, 31
	v_mul_f32_e32 v1, 0x4f7ffffe, v1
	v_cvt_u32_f32_e32 v1, v1
	s_nop 0
	v_readfirstlane_b32 s12, v1
	s_mul_i32 s11, s11, s12
	s_mul_hi_u32 s11, s12, s11
	s_add_i32 s12, s12, s11
	s_mul_hi_u32 s11, s10, s12
	s_mul_i32 s12, s11, s8
	s_sub_i32 s10, s10, s12
	s_add_i32 s12, s11, 1
	s_sub_i32 s13, s10, s8
	s_cmp_ge_u32 s10, s8
	s_cselect_b32 s11, s12, s11
	s_cselect_b32 s10, s13, s10
	s_add_i32 s12, s11, 1
	s_cmp_ge_u32 s10, s8
	s_cselect_b32 s8, s12, s11
	s_xor_b32 s8, s8, s9
	s_sub_i32 s28, s8, s9
	s_abs_i32 s27, s28
	v_cvt_f32_u32_e32 v1, s27
	s_load_dword s8, s[0:1], 0x68
	v_rcp_iflag_f32_e32 v1, v1
	s_waitcnt lgkmcnt(0)
	s_cmp_ge_i32 s33, s8
	v_mul_f32_e32 v1, 0x4f7ffffe, v1
	v_cvt_u32_f32_e32 v1, v1
	s_nop 0
	v_readfirstlane_b32 s29, v1
	s_cbranch_scc1 .LBB40_28
; %bb.1:
	s_mul_i32 s6, s3, s6
	s_sub_i32 s6, s2, s6
	s_mul_i32 s2, s26, s5
	s_load_dwordx2 s[34:35], s[24:25], 0x0
	s_load_dwordx8 s[8:15], s[24:25], 0x24
	s_sub_i32 s16, s3, s2
	s_load_dwordx4 s[36:39], s[24:25], 0x44
	s_load_dword s2, s[0:1], 0xc4
	s_load_dword s53, s[0:1], 0x38
	s_mul_i32 s3, s33, s4
	v_lshrrev_b32_e32 v1, 6, v0
	s_sub_i32 s20, s26, s3
	s_waitcnt lgkmcnt(0)
	s_and_b32 s52, s2, 0xffff
	s_mul_i32 s53, s53, s21
	v_cmp_gt_i32_e32 vcc, s53, v1
	v_mov_b32_e32 v2, 0
	s_and_saveexec_b64 s[40:41], vcc
	s_cbranch_execz .LBB40_23
; %bb.2:
	s_sub_i32 s5, 0, s27
	s_mul_i32 s5, s5, s29
	s_mul_hi_u32 s5, s29, s5
	s_abs_i32 s4, s33
	s_add_i32 s29, s29, s5
	s_ashr_i32 s2, s33, 31
	s_ashr_i32 s3, s28, 31
	s_mul_hi_u32 s5, s4, s29
	s_xor_b32 s2, s2, s3
	s_mul_i32 s3, s5, s27
	s_sub_i32 s3, s4, s3
	s_lshr_b32 s54, s52, 6
	s_add_i32 s4, s5, 1
	s_sub_i32 s24, s3, s27
	s_cmp_ge_u32 s3, s27
	s_cselect_b32 s4, s4, s5
	s_cselect_b32 s3, s24, s3
	s_add_i32 s5, s4, 1
	s_cmp_ge_u32 s3, s27
	s_cselect_b32 s3, s5, s4
	s_abs_i32 s4, s21
	v_cvt_f32_u32_e32 v2, s4
	s_xor_b32 s3, s3, s2
	s_sub_i32 s46, s3, s2
	s_sub_i32 s2, 0, s4
	v_rcp_iflag_f32_e32 v3, v2
	s_ashr_i32 s5, s21, 31
	v_and_b32_e32 v2, 63, v0
	v_mul_f32_e32 v3, 0x4f7ffffe, v3
	v_cvt_u32_f32_e32 v3, v3
	v_mul_lo_u32 v4, s2, v3
	v_mul_hi_u32 v4, v3, v4
	v_add_u32_e32 v3, v3, v4
	v_mul_hi_u32 v3, v1, v3
	v_mul_lo_u32 v4, v3, s4
	v_sub_u32_e32 v4, v1, v4
	v_add_u32_e32 v5, 1, v3
	v_cmp_le_u32_e32 vcc, s4, v4
	s_load_dwordx2 s[2:3], s[0:1], 0x0
	s_load_dwordx4 s[24:27], s[0:1], 0x1c
	v_cndmask_b32_e32 v3, v3, v5, vcc
	v_subrev_u32_e32 v5, s4, v4
	v_cndmask_b32_e32 v4, v4, v5, vcc
	v_add_u32_e32 v5, 1, v3
	v_cmp_le_u32_e32 vcc, s4, v4
	s_load_dwordx2 s[44:45], s[0:1], 0x30
	s_load_dwordx4 s[28:31], s[0:1], 0x4c
	v_cndmask_b32_e32 v3, v3, v5, vcc
	s_mul_i32 s4, s20, s37
	v_xor_b32_e32 v3, s5, v3
	s_waitcnt lgkmcnt(0)
	s_sub_i32 s27, s4, s14
	s_mul_i32 s4, s25, s33
	v_subrev_u32_e32 v9, s5, v3
	s_ashr_i32 s5, s4, 31
	s_lshl_b64 s[0:1], s[4:5], 1
	s_add_u32 s42, s2, s0
	s_mul_i32 s0, s29, s46
	s_addc_u32 s43, s3, s1
	s_ashr_i32 s1, s0, 31
	s_lshl_b64 s[0:1], s[0:1], 1
	s_add_u32 s44, s44, s0
	s_addc_u32 s45, s45, s1
	s_abs_i32 s0, s23
	v_cvt_f32_u32_e32 v4, s0
	s_sub_i32 s2, 0, s0
	s_mul_i32 s1, s6, s39
	s_sub_i32 s25, s1, s36
	v_rcp_iflag_f32_e32 v4, v4
	s_mul_i32 s1, s16, s38
	s_sub_i32 s29, s1, s15
	s_ashr_i32 s1, s23, 31
	v_mul_f32_e32 v4, 0x4f7ffffe, v4
	v_cvt_u32_f32_e32 v4, v4
	v_mul_lo_u32 v3, v9, s21
	v_sub_u32_e32 v10, v1, v3
	v_mov_b32_e32 v3, 0
	v_mul_lo_u32 v5, s2, v4
	v_mul_hi_u32 v5, v4, v5
	v_add_u32_e32 v4, v4, v5
	v_mul_hi_u32 v4, v2, v4
	v_mul_lo_u32 v5, v4, s0
	v_sub_u32_e32 v5, v2, v5
	v_add_u32_e32 v6, 1, v4
	v_cmp_le_u32_e32 vcc, s0, v5
	s_mov_b64 s[14:15], 0
	s_mov_b64 s[36:37], 0x80
	v_cndmask_b32_e32 v4, v4, v6, vcc
	v_subrev_u32_e32 v6, s0, v5
	v_cndmask_b32_e32 v5, v5, v6, vcc
	v_add_u32_e32 v6, 1, v4
	v_cmp_le_u32_e32 vcc, s0, v5
	v_mov_b32_e32 v13, v3
	s_nop 0
	v_cndmask_b32_e32 v4, v4, v6, vcc
	v_xor_b32_e32 v4, s1, v4
	v_subrev_u32_e32 v11, s1, v4
	v_mul_lo_u32 v4, v11, s23
	v_cmp_gt_i32_e32 vcc, s22, v11
	v_sub_u32_e32 v12, v2, v4
	v_lshlrev_b32_e32 v2, 1, v2
	s_branch .LBB40_6
.LBB40_3:                               ;   in Loop: Header=BB40_6 Depth=1
	s_or_b64 exec, exec, s[48:49]
.LBB40_4:                               ;   in Loop: Header=BB40_6 Depth=1
	s_or_b64 exec, exec, s[46:47]
.LBB40_5:                               ;   in Loop: Header=BB40_6 Depth=1
	s_or_b64 exec, exec, s[38:39]
	v_add_u32_e32 v1, s54, v1
	v_cmp_le_i32_e64 s[0:1], s53, v1
	s_or_b64 s[14:15], s[0:1], s[14:15]
	v_add_u32_e32 v10, s54, v10
	s_andn2_b64 exec, exec, s[14:15]
	s_cbranch_execz .LBB40_22
.LBB40_6:                               ; =>This Loop Header: Depth=1
                                        ;     Child Loop BB40_8 Depth 2
                                        ;     Child Loop BB40_14 Depth 2
                                        ;       Child Loop BB40_20 Depth 3
	v_cmp_le_i32_e64 s[0:1], s21, v10
	s_and_saveexec_b64 s[2:3], s[0:1]
	s_cbranch_execz .LBB40_10
; %bb.7:                                ;   in Loop: Header=BB40_6 Depth=1
	s_mov_b64 s[4:5], 0
.LBB40_8:                               ;   Parent Loop BB40_6 Depth=1
                                        ; =>  This Inner Loop Header: Depth=2
	v_subrev_u32_e32 v10, s21, v10
	v_cmp_gt_i32_e64 s[0:1], s21, v10
	s_or_b64 s[4:5], s[0:1], s[4:5]
	v_add_u32_e32 v9, 1, v9
	s_andn2_b64 exec, exec, s[4:5]
	s_cbranch_execnz .LBB40_8
; %bb.9:                                ;   in Loop: Header=BB40_6 Depth=1
	s_or_b64 exec, exec, s[4:5]
.LBB40_10:                              ;   in Loop: Header=BB40_6 Depth=1
	s_or_b64 exec, exec, s[2:3]
	v_mul_lo_u32 v4, v10, s11
	v_add_u32_e32 v4, s27, v4
	v_cmp_lt_i32_e64 s[0:1], -1, v4
	v_cmp_gt_i32_e64 s[2:3], s17, v4
	s_and_b64 s[0:1], s[0:1], s[2:3]
	s_and_saveexec_b64 s[38:39], s[0:1]
	s_cbranch_execz .LBB40_5
; %bb.11:                               ;   in Loop: Header=BB40_6 Depth=1
	s_and_saveexec_b64 s[46:47], vcc
	s_cbranch_execz .LBB40_4
; %bb.12:                               ;   in Loop: Header=BB40_6 Depth=1
	v_mul_lo_u32 v6, s28, v9
	v_ashrrev_i32_e32 v7, 31, v6
	v_mul_lo_u32 v4, s30, v4
	v_lshl_add_u64 v[6:7], v[6:7], 1, s[44:45]
	v_ashrrev_i32_e32 v5, 31, v4
	v_lshl_add_u64 v[4:5], v[4:5], 1, v[6:7]
	v_mul_lo_u32 v6, s24, v9
	v_ashrrev_i32_e32 v7, 31, v6
	v_mul_lo_u32 v14, s26, v10
	v_lshl_add_u64 v[6:7], v[6:7], 1, s[42:43]
	v_ashrrev_i32_e32 v15, 31, v14
	v_lshl_add_u64 v[6:7], v[14:15], 1, v[6:7]
	v_lshl_add_u64 v[6:7], v[6:7], 0, v[2:3]
	s_mov_b64 s[48:49], 0
	v_mov_b32_e32 v14, v12
	v_mov_b32_e32 v15, v11
	s_branch .LBB40_14
.LBB40_13:                              ;   in Loop: Header=BB40_14 Depth=2
	s_or_b64 exec, exec, s[2:3]
	v_cmp_le_i32_e64 s[0:1], s22, v15
	v_lshl_add_u64 v[6:7], v[6:7], 0, s[36:37]
	s_or_b64 s[48:49], s[0:1], s[48:49]
	s_waitcnt vmcnt(0)
	v_fma_mix_f32 v13, v17, v16, v13 op_sel_hi:[0,1,0]
	s_andn2_b64 exec, exec, s[48:49]
	s_cbranch_execz .LBB40_3
.LBB40_14:                              ;   Parent Loop BB40_6 Depth=1
                                        ; =>  This Loop Header: Depth=2
                                        ;       Child Loop BB40_20 Depth 3
	global_load_ushort v16, v[6:7], off
	v_mul_lo_u32 v8, v14, s13
	v_add_u32_e32 v8, s25, v8
	v_cmp_lt_i32_e64 s[0:1], -1, v8
	v_mov_b32_e32 v17, 0
	s_and_saveexec_b64 s[50:51], s[0:1]
	s_cbranch_execz .LBB40_18
; %bb.15:                               ;   in Loop: Header=BB40_14 Depth=2
	v_mul_lo_u32 v17, v15, s12
	v_add_u32_e32 v18, s29, v17
	v_cmp_gt_i32_e64 s[0:1], s19, v8
	v_cmp_gt_i32_e64 s[4:5], s18, v18
	v_cmp_lt_i32_e64 s[2:3], -1, v18
	s_and_b64 s[0:1], s[0:1], s[4:5]
	s_and_b64 s[2:3], s[0:1], s[2:3]
	v_mov_b32_e32 v17, 0
	s_and_saveexec_b64 s[0:1], s[2:3]
	s_cbranch_execz .LBB40_17
; %bb.16:                               ;   in Loop: Header=BB40_14 Depth=2
	v_mad_u64_u32 v[18:19], s[2:3], v18, s19, v[8:9]
	v_mov_b32_e32 v19, v3
	v_lshl_add_u64 v[18:19], v[18:19], 1, v[4:5]
	global_load_ushort v8, v[18:19], off
	s_waitcnt vmcnt(0)
	v_cvt_f32_f16_e32 v17, v8
.LBB40_17:                              ;   in Loop: Header=BB40_14 Depth=2
	s_or_b64 exec, exec, s[0:1]
.LBB40_18:                              ;   in Loop: Header=BB40_14 Depth=2
	s_or_b64 exec, exec, s[50:51]
	v_add_u32_e32 v14, 64, v14
	v_cmp_le_i32_e64 s[0:1], s23, v14
	s_and_saveexec_b64 s[2:3], s[0:1]
	s_cbranch_execz .LBB40_13
; %bb.19:                               ;   in Loop: Header=BB40_14 Depth=2
	s_mov_b64 s[4:5], 0
.LBB40_20:                              ;   Parent Loop BB40_6 Depth=1
                                        ;     Parent Loop BB40_14 Depth=2
                                        ; =>    This Inner Loop Header: Depth=3
	v_subrev_u32_e32 v14, s23, v14
	v_cmp_gt_i32_e64 s[0:1], s23, v14
	s_or_b64 s[4:5], s[0:1], s[4:5]
	v_add_u32_e32 v15, 1, v15
	s_andn2_b64 exec, exec, s[4:5]
	s_cbranch_execnz .LBB40_20
; %bb.21:                               ;   in Loop: Header=BB40_14 Depth=2
	s_or_b64 exec, exec, s[4:5]
	s_branch .LBB40_13
.LBB40_22:
	s_or_b64 exec, exec, s[14:15]
	v_cvt_f16_f32_e32 v2, v13
.LBB40_23:
	s_or_b64 exec, exec, s[40:41]
	s_bcnt1_i32_b32 s0, s52
	v_lshl_add_u32 v1, v0, 1, 0
	s_cmp_lg_u32 s0, 1
	s_mov_b64 s[0:1], -1
	ds_write_b16 v1, v2
	s_waitcnt lgkmcnt(0)
	s_barrier
	s_cbranch_scc1 .LBB40_32
; %bb.24:
	s_andn2_b64 vcc, exec, s[0:1]
	s_cbranch_vccnz .LBB40_28
.LBB40_25:
	s_cmp_lt_u32 s52, 2
	s_cbranch_scc0 .LBB40_30
.LBB40_26:
	v_cmp_eq_u32_e32 vcc, 0, v0
	s_and_saveexec_b64 s[0:1], vcc
	s_cbranch_execz .LBB40_28
; %bb.27:
	s_mul_i32 s0, s7, s33
	s_ashr_i32 s1, s0, 31
	s_lshl_b64 s[0:1], s[0:1], 1
	s_add_u32 s2, s34, s0
	s_mul_i32 s0, s8, s20
	s_addc_u32 s3, s35, s1
	s_ashr_i32 s1, s0, 31
	s_lshl_b64 s[0:1], s[0:1], 1
	s_add_u32 s2, s2, s0
	s_mul_i32 s0, s9, s16
	s_addc_u32 s3, s3, s1
	s_ashr_i32 s1, s0, 31
	s_lshl_b64 s[0:1], s[0:1], 1
	v_mov_b32_e32 v0, 0
	s_add_u32 s2, s2, s0
	s_mul_i32 s0, s10, s6
	ds_read_u16 v1, v0
	s_addc_u32 s3, s3, s1
	s_ashr_i32 s1, s0, 31
	s_lshl_b64 s[0:1], s[0:1], 1
	s_add_u32 s0, s2, s0
	s_addc_u32 s1, s3, s1
	s_waitcnt lgkmcnt(0)
	global_store_short v0, v1, s[0:1]
.LBB40_28:
	s_endpgm
.LBB40_29:                              ;   in Loop: Header=BB40_30 Depth=1
	s_or_b64 exec, exec, s[0:1]
	s_cmp_lt_u32 s52, 4
	s_mov_b32 s52, s2
	s_waitcnt lgkmcnt(0)
	s_barrier
	s_cbranch_scc1 .LBB40_26
.LBB40_30:                              ; =>This Inner Loop Header: Depth=1
	s_lshr_b32 s2, s52, 1
	v_cmp_gt_u32_e32 vcc, s2, v0
	s_and_saveexec_b64 s[0:1], vcc
	s_cbranch_execz .LBB40_29
; %bb.31:                               ;   in Loop: Header=BB40_30 Depth=1
	v_lshl_add_u32 v2, s2, 1, v1
	ds_read_u16 v2, v2
	ds_read_u16 v3, v1
	s_waitcnt lgkmcnt(0)
	v_add_f16_e32 v2, v2, v3
	ds_write_b16 v1, v2
	s_branch .LBB40_29
.LBB40_32:
	s_trap 2
	; divergent unreachable
	s_cbranch_execz .LBB40_25
	s_branch .LBB40_28
	.section	.rodata,"a",@progbits
	.p2align	6, 0x0
	.amdhsa_kernel _ZN2at6native12_GLOBAL__N_144conv_depthwise3d_cuda_backward_weight_kernelIN3c104HalfEfLin1ELin1EEEvN5torch10headeronly6detail27GenericPackedTensorAccessorINS7_14TensorAccessorINS3_8ArrayRefIlEEKT_Lm4ENS6_16DefaultPtrTraitsEiEENS_6detail16IndexBoundsCheckILm5EiEESD_Lm5ESE_iEESJ_NS8_INS9_ISB_SC_Lm4ESE_iEESI_SC_Lm5ESE_iEEiiiiiiiii
		.amdhsa_group_segment_fixed_size 0
		.amdhsa_private_segment_fixed_size 0
		.amdhsa_kernarg_size 440
		.amdhsa_user_sgpr_count 2
		.amdhsa_user_sgpr_dispatch_ptr 0
		.amdhsa_user_sgpr_queue_ptr 0
		.amdhsa_user_sgpr_kernarg_segment_ptr 1
		.amdhsa_user_sgpr_dispatch_id 0
		.amdhsa_user_sgpr_kernarg_preload_length 0
		.amdhsa_user_sgpr_kernarg_preload_offset 0
		.amdhsa_user_sgpr_private_segment_size 0
		.amdhsa_uses_dynamic_stack 0
		.amdhsa_enable_private_segment 0
		.amdhsa_system_sgpr_workgroup_id_x 1
		.amdhsa_system_sgpr_workgroup_id_y 0
		.amdhsa_system_sgpr_workgroup_id_z 0
		.amdhsa_system_sgpr_workgroup_info 0
		.amdhsa_system_vgpr_workitem_id 0
		.amdhsa_next_free_vgpr 20
		.amdhsa_next_free_sgpr 55
		.amdhsa_accum_offset 20
		.amdhsa_reserve_vcc 1
		.amdhsa_float_round_mode_32 0
		.amdhsa_float_round_mode_16_64 0
		.amdhsa_float_denorm_mode_32 3
		.amdhsa_float_denorm_mode_16_64 3
		.amdhsa_dx10_clamp 1
		.amdhsa_ieee_mode 1
		.amdhsa_fp16_overflow 0
		.amdhsa_tg_split 0
		.amdhsa_exception_fp_ieee_invalid_op 0
		.amdhsa_exception_fp_denorm_src 0
		.amdhsa_exception_fp_ieee_div_zero 0
		.amdhsa_exception_fp_ieee_overflow 0
		.amdhsa_exception_fp_ieee_underflow 0
		.amdhsa_exception_fp_ieee_inexact 0
		.amdhsa_exception_int_div_zero 0
	.end_amdhsa_kernel
	.section	.text._ZN2at6native12_GLOBAL__N_144conv_depthwise3d_cuda_backward_weight_kernelIN3c104HalfEfLin1ELin1EEEvN5torch10headeronly6detail27GenericPackedTensorAccessorINS7_14TensorAccessorINS3_8ArrayRefIlEEKT_Lm4ENS6_16DefaultPtrTraitsEiEENS_6detail16IndexBoundsCheckILm5EiEESD_Lm5ESE_iEESJ_NS8_INS9_ISB_SC_Lm4ESE_iEESI_SC_Lm5ESE_iEEiiiiiiiii,"axG",@progbits,_ZN2at6native12_GLOBAL__N_144conv_depthwise3d_cuda_backward_weight_kernelIN3c104HalfEfLin1ELin1EEEvN5torch10headeronly6detail27GenericPackedTensorAccessorINS7_14TensorAccessorINS3_8ArrayRefIlEEKT_Lm4ENS6_16DefaultPtrTraitsEiEENS_6detail16IndexBoundsCheckILm5EiEESD_Lm5ESE_iEESJ_NS8_INS9_ISB_SC_Lm4ESE_iEESI_SC_Lm5ESE_iEEiiiiiiiii,comdat
.Lfunc_end40:
	.size	_ZN2at6native12_GLOBAL__N_144conv_depthwise3d_cuda_backward_weight_kernelIN3c104HalfEfLin1ELin1EEEvN5torch10headeronly6detail27GenericPackedTensorAccessorINS7_14TensorAccessorINS3_8ArrayRefIlEEKT_Lm4ENS6_16DefaultPtrTraitsEiEENS_6detail16IndexBoundsCheckILm5EiEESD_Lm5ESE_iEESJ_NS8_INS9_ISB_SC_Lm4ESE_iEESI_SC_Lm5ESE_iEEiiiiiiiii, .Lfunc_end40-_ZN2at6native12_GLOBAL__N_144conv_depthwise3d_cuda_backward_weight_kernelIN3c104HalfEfLin1ELin1EEEvN5torch10headeronly6detail27GenericPackedTensorAccessorINS7_14TensorAccessorINS3_8ArrayRefIlEEKT_Lm4ENS6_16DefaultPtrTraitsEiEENS_6detail16IndexBoundsCheckILm5EiEESD_Lm5ESE_iEESJ_NS8_INS9_ISB_SC_Lm4ESE_iEESI_SC_Lm5ESE_iEEiiiiiiiii
                                        ; -- End function
	.set _ZN2at6native12_GLOBAL__N_144conv_depthwise3d_cuda_backward_weight_kernelIN3c104HalfEfLin1ELin1EEEvN5torch10headeronly6detail27GenericPackedTensorAccessorINS7_14TensorAccessorINS3_8ArrayRefIlEEKT_Lm4ENS6_16DefaultPtrTraitsEiEENS_6detail16IndexBoundsCheckILm5EiEESD_Lm5ESE_iEESJ_NS8_INS9_ISB_SC_Lm4ESE_iEESI_SC_Lm5ESE_iEEiiiiiiiii.num_vgpr, 20
	.set _ZN2at6native12_GLOBAL__N_144conv_depthwise3d_cuda_backward_weight_kernelIN3c104HalfEfLin1ELin1EEEvN5torch10headeronly6detail27GenericPackedTensorAccessorINS7_14TensorAccessorINS3_8ArrayRefIlEEKT_Lm4ENS6_16DefaultPtrTraitsEiEENS_6detail16IndexBoundsCheckILm5EiEESD_Lm5ESE_iEESJ_NS8_INS9_ISB_SC_Lm4ESE_iEESI_SC_Lm5ESE_iEEiiiiiiiii.num_agpr, 0
	.set _ZN2at6native12_GLOBAL__N_144conv_depthwise3d_cuda_backward_weight_kernelIN3c104HalfEfLin1ELin1EEEvN5torch10headeronly6detail27GenericPackedTensorAccessorINS7_14TensorAccessorINS3_8ArrayRefIlEEKT_Lm4ENS6_16DefaultPtrTraitsEiEENS_6detail16IndexBoundsCheckILm5EiEESD_Lm5ESE_iEESJ_NS8_INS9_ISB_SC_Lm4ESE_iEESI_SC_Lm5ESE_iEEiiiiiiiii.numbered_sgpr, 55
	.set _ZN2at6native12_GLOBAL__N_144conv_depthwise3d_cuda_backward_weight_kernelIN3c104HalfEfLin1ELin1EEEvN5torch10headeronly6detail27GenericPackedTensorAccessorINS7_14TensorAccessorINS3_8ArrayRefIlEEKT_Lm4ENS6_16DefaultPtrTraitsEiEENS_6detail16IndexBoundsCheckILm5EiEESD_Lm5ESE_iEESJ_NS8_INS9_ISB_SC_Lm4ESE_iEESI_SC_Lm5ESE_iEEiiiiiiiii.num_named_barrier, 0
	.set _ZN2at6native12_GLOBAL__N_144conv_depthwise3d_cuda_backward_weight_kernelIN3c104HalfEfLin1ELin1EEEvN5torch10headeronly6detail27GenericPackedTensorAccessorINS7_14TensorAccessorINS3_8ArrayRefIlEEKT_Lm4ENS6_16DefaultPtrTraitsEiEENS_6detail16IndexBoundsCheckILm5EiEESD_Lm5ESE_iEESJ_NS8_INS9_ISB_SC_Lm4ESE_iEESI_SC_Lm5ESE_iEEiiiiiiiii.private_seg_size, 0
	.set _ZN2at6native12_GLOBAL__N_144conv_depthwise3d_cuda_backward_weight_kernelIN3c104HalfEfLin1ELin1EEEvN5torch10headeronly6detail27GenericPackedTensorAccessorINS7_14TensorAccessorINS3_8ArrayRefIlEEKT_Lm4ENS6_16DefaultPtrTraitsEiEENS_6detail16IndexBoundsCheckILm5EiEESD_Lm5ESE_iEESJ_NS8_INS9_ISB_SC_Lm4ESE_iEESI_SC_Lm5ESE_iEEiiiiiiiii.uses_vcc, 1
	.set _ZN2at6native12_GLOBAL__N_144conv_depthwise3d_cuda_backward_weight_kernelIN3c104HalfEfLin1ELin1EEEvN5torch10headeronly6detail27GenericPackedTensorAccessorINS7_14TensorAccessorINS3_8ArrayRefIlEEKT_Lm4ENS6_16DefaultPtrTraitsEiEENS_6detail16IndexBoundsCheckILm5EiEESD_Lm5ESE_iEESJ_NS8_INS9_ISB_SC_Lm4ESE_iEESI_SC_Lm5ESE_iEEiiiiiiiii.uses_flat_scratch, 0
	.set _ZN2at6native12_GLOBAL__N_144conv_depthwise3d_cuda_backward_weight_kernelIN3c104HalfEfLin1ELin1EEEvN5torch10headeronly6detail27GenericPackedTensorAccessorINS7_14TensorAccessorINS3_8ArrayRefIlEEKT_Lm4ENS6_16DefaultPtrTraitsEiEENS_6detail16IndexBoundsCheckILm5EiEESD_Lm5ESE_iEESJ_NS8_INS9_ISB_SC_Lm4ESE_iEESI_SC_Lm5ESE_iEEiiiiiiiii.has_dyn_sized_stack, 0
	.set _ZN2at6native12_GLOBAL__N_144conv_depthwise3d_cuda_backward_weight_kernelIN3c104HalfEfLin1ELin1EEEvN5torch10headeronly6detail27GenericPackedTensorAccessorINS7_14TensorAccessorINS3_8ArrayRefIlEEKT_Lm4ENS6_16DefaultPtrTraitsEiEENS_6detail16IndexBoundsCheckILm5EiEESD_Lm5ESE_iEESJ_NS8_INS9_ISB_SC_Lm4ESE_iEESI_SC_Lm5ESE_iEEiiiiiiiii.has_recursion, 0
	.set _ZN2at6native12_GLOBAL__N_144conv_depthwise3d_cuda_backward_weight_kernelIN3c104HalfEfLin1ELin1EEEvN5torch10headeronly6detail27GenericPackedTensorAccessorINS7_14TensorAccessorINS3_8ArrayRefIlEEKT_Lm4ENS6_16DefaultPtrTraitsEiEENS_6detail16IndexBoundsCheckILm5EiEESD_Lm5ESE_iEESJ_NS8_INS9_ISB_SC_Lm4ESE_iEESI_SC_Lm5ESE_iEEiiiiiiiii.has_indirect_call, 0
	.section	.AMDGPU.csdata,"",@progbits
; Kernel info:
; codeLenInByte = 1808
; TotalNumSgprs: 61
; NumVgprs: 20
; NumAgprs: 0
; TotalNumVgprs: 20
; ScratchSize: 0
; MemoryBound: 0
; FloatMode: 240
; IeeeMode: 1
; LDSByteSize: 0 bytes/workgroup (compile time only)
; SGPRBlocks: 7
; VGPRBlocks: 2
; NumSGPRsForWavesPerEU: 61
; NumVGPRsForWavesPerEU: 20
; AccumOffset: 20
; Occupancy: 8
; WaveLimiterHint : 1
; COMPUTE_PGM_RSRC2:SCRATCH_EN: 0
; COMPUTE_PGM_RSRC2:USER_SGPR: 2
; COMPUTE_PGM_RSRC2:TRAP_HANDLER: 0
; COMPUTE_PGM_RSRC2:TGID_X_EN: 1
; COMPUTE_PGM_RSRC2:TGID_Y_EN: 0
; COMPUTE_PGM_RSRC2:TGID_Z_EN: 0
; COMPUTE_PGM_RSRC2:TIDIG_COMP_CNT: 0
; COMPUTE_PGM_RSRC3_GFX90A:ACCUM_OFFSET: 4
; COMPUTE_PGM_RSRC3_GFX90A:TG_SPLIT: 0
	.section	.text._ZN2at6native12_GLOBAL__N_144conv_depthwise3d_cuda_backward_weight_kernelIN3c108BFloat16EfLi1ELi1EEEvN5torch10headeronly6detail27GenericPackedTensorAccessorINS7_14TensorAccessorINS3_8ArrayRefIlEEKT_Lm4ENS6_16DefaultPtrTraitsEiEENS_6detail16IndexBoundsCheckILm5EiEESD_Lm5ESE_iEESJ_NS8_INS9_ISB_SC_Lm4ESE_iEESI_SC_Lm5ESE_iEEiiiiiiiii,"axG",@progbits,_ZN2at6native12_GLOBAL__N_144conv_depthwise3d_cuda_backward_weight_kernelIN3c108BFloat16EfLi1ELi1EEEvN5torch10headeronly6detail27GenericPackedTensorAccessorINS7_14TensorAccessorINS3_8ArrayRefIlEEKT_Lm4ENS6_16DefaultPtrTraitsEiEENS_6detail16IndexBoundsCheckILm5EiEESD_Lm5ESE_iEESJ_NS8_INS9_ISB_SC_Lm4ESE_iEESI_SC_Lm5ESE_iEEiiiiiiiii,comdat
	.globl	_ZN2at6native12_GLOBAL__N_144conv_depthwise3d_cuda_backward_weight_kernelIN3c108BFloat16EfLi1ELi1EEEvN5torch10headeronly6detail27GenericPackedTensorAccessorINS7_14TensorAccessorINS3_8ArrayRefIlEEKT_Lm4ENS6_16DefaultPtrTraitsEiEENS_6detail16IndexBoundsCheckILm5EiEESD_Lm5ESE_iEESJ_NS8_INS9_ISB_SC_Lm4ESE_iEESI_SC_Lm5ESE_iEEiiiiiiiii ; -- Begin function _ZN2at6native12_GLOBAL__N_144conv_depthwise3d_cuda_backward_weight_kernelIN3c108BFloat16EfLi1ELi1EEEvN5torch10headeronly6detail27GenericPackedTensorAccessorINS7_14TensorAccessorINS3_8ArrayRefIlEEKT_Lm4ENS6_16DefaultPtrTraitsEiEENS_6detail16IndexBoundsCheckILm5EiEESD_Lm5ESE_iEESJ_NS8_INS9_ISB_SC_Lm4ESE_iEESI_SC_Lm5ESE_iEEiiiiiiiii
	.p2align	8
	.type	_ZN2at6native12_GLOBAL__N_144conv_depthwise3d_cuda_backward_weight_kernelIN3c108BFloat16EfLi1ELi1EEEvN5torch10headeronly6detail27GenericPackedTensorAccessorINS7_14TensorAccessorINS3_8ArrayRefIlEEKT_Lm4ENS6_16DefaultPtrTraitsEiEENS_6detail16IndexBoundsCheckILm5EiEESD_Lm5ESE_iEESJ_NS8_INS9_ISB_SC_Lm4ESE_iEESI_SC_Lm5ESE_iEEiiiiiiiii,@function
_ZN2at6native12_GLOBAL__N_144conv_depthwise3d_cuda_backward_weight_kernelIN3c108BFloat16EfLi1ELi1EEEvN5torch10headeronly6detail27GenericPackedTensorAccessorINS7_14TensorAccessorINS3_8ArrayRefIlEEKT_Lm4ENS6_16DefaultPtrTraitsEiEENS_6detail16IndexBoundsCheckILm5EiEESD_Lm5ESE_iEESJ_NS8_INS9_ISB_SC_Lm4ESE_iEESI_SC_Lm5ESE_iEEiiiiiiiii: ; @_ZN2at6native12_GLOBAL__N_144conv_depthwise3d_cuda_backward_weight_kernelIN3c108BFloat16EfLi1ELi1EEEvN5torch10headeronly6detail27GenericPackedTensorAccessorINS7_14TensorAccessorINS3_8ArrayRefIlEEKT_Lm4ENS6_16DefaultPtrTraitsEiEENS_6detail16IndexBoundsCheckILm5EiEESD_Lm5ESE_iEESJ_NS8_INS9_ISB_SC_Lm4ESE_iEESI_SC_Lm5ESE_iEEiiiiiiiii
; %bb.0:
	s_load_dwordx4 s[4:7], s[0:1], 0x70
	s_add_u32 s20, s0, 0x60
	s_addc_u32 s21, s1, 0
	s_load_dwordx4 s[12:15], s[0:1], 0x3c
	s_load_dwordx4 s[16:19], s[0:1], 0xc
	s_waitcnt lgkmcnt(0)
	v_cvt_f32_u32_e32 v1, s6
	v_cvt_f32_u32_e32 v2, s5
	s_sub_i32 s3, 0, s6
	v_rcp_iflag_f32_e32 v1, v1
	v_rcp_iflag_f32_e32 v2, v2
	v_mul_f32_e32 v1, 0x4f7ffffe, v1
	v_cvt_u32_f32_e32 v1, v1
	v_mul_f32_e32 v2, 0x4f7ffffe, v2
	v_cvt_u32_f32_e32 v2, v2
	v_readfirstlane_b32 s8, v1
	s_mul_i32 s3, s3, s8
	s_mul_hi_u32 s3, s8, s3
	s_add_i32 s8, s8, s3
	s_mul_hi_u32 s3, s2, s8
	s_mul_i32 s8, s3, s6
	s_sub_i32 s8, s2, s8
	s_add_i32 s10, s3, 1
	s_sub_i32 s11, s8, s6
	s_cmp_ge_u32 s8, s6
	s_cselect_b32 s3, s10, s3
	s_cselect_b32 s8, s11, s8
	s_add_i32 s10, s3, 1
	s_cmp_ge_u32 s8, s6
	v_cvt_f32_u32_e32 v1, s4
	v_readfirstlane_b32 s9, v2
	s_cselect_b32 s3, s10, s3
	s_sub_i32 s8, 0, s5
	s_mul_i32 s8, s8, s9
	s_mul_hi_u32 s8, s9, s8
	s_add_i32 s9, s9, s8
	v_rcp_iflag_f32_e32 v1, v1
	s_mul_hi_u32 s8, s3, s9
	s_mul_i32 s9, s8, s5
	s_sub_i32 s9, s3, s9
	s_add_i32 s10, s8, 1
	s_sub_i32 s11, s9, s5
	v_mul_f32_e32 v1, 0x4f7ffffe, v1
	s_cmp_ge_u32 s9, s5
	v_cvt_u32_f32_e32 v1, v1
	s_cselect_b32 s8, s10, s8
	s_cselect_b32 s9, s11, s9
	s_add_i32 s10, s8, 1
	s_cmp_ge_u32 s9, s5
	s_cselect_b32 s22, s10, s8
	s_sub_i32 s8, 0, s4
	v_readfirstlane_b32 s9, v1
	s_mul_i32 s8, s8, s9
	s_mul_hi_u32 s8, s9, s8
	s_add_i32 s9, s9, s8
	s_mul_hi_u32 s8, s22, s9
	s_mul_i32 s9, s8, s4
	s_sub_i32 s9, s22, s9
	s_add_i32 s10, s8, 1
	s_sub_i32 s11, s9, s4
	s_cmp_ge_u32 s9, s4
	s_cselect_b32 s8, s10, s8
	s_cselect_b32 s9, s11, s9
	s_add_i32 s10, s8, 1
	s_cmp_ge_u32 s9, s4
	s_cselect_b32 s33, s10, s8
	s_abs_i32 s8, s12
	v_cvt_f32_u32_e32 v1, s8
	s_xor_b32 s9, s16, s12
	s_sub_i32 s11, 0, s8
	s_abs_i32 s10, s16
	v_rcp_iflag_f32_e32 v1, v1
	s_ashr_i32 s9, s9, 31
	v_mul_f32_e32 v1, 0x4f7ffffe, v1
	v_cvt_u32_f32_e32 v1, v1
	s_nop 0
	v_readfirstlane_b32 s12, v1
	s_mul_i32 s11, s11, s12
	s_mul_hi_u32 s11, s12, s11
	s_add_i32 s12, s12, s11
	s_mul_hi_u32 s11, s10, s12
	s_mul_i32 s12, s11, s8
	s_sub_i32 s10, s10, s12
	s_add_i32 s12, s11, 1
	s_sub_i32 s16, s10, s8
	s_cmp_ge_u32 s10, s8
	s_cselect_b32 s11, s12, s11
	s_cselect_b32 s10, s16, s10
	s_add_i32 s12, s11, 1
	s_cmp_ge_u32 s10, s8
	s_cselect_b32 s8, s12, s11
	s_xor_b32 s8, s8, s9
	s_sub_i32 s24, s8, s9
	s_abs_i32 s23, s24
	v_cvt_f32_u32_e32 v1, s23
	s_load_dword s8, s[0:1], 0x68
	v_rcp_iflag_f32_e32 v1, v1
	s_waitcnt lgkmcnt(0)
	s_cmp_ge_i32 s33, s8
	v_mul_f32_e32 v1, 0x4f7ffffe, v1
	v_cvt_u32_f32_e32 v1, v1
	s_nop 0
	v_readfirstlane_b32 s25, v1
	s_cbranch_scc1 .LBB41_32
; %bb.1:
	s_mul_i32 s6, s3, s6
	s_sub_i32 s6, s2, s6
	s_mul_i32 s2, s22, s5
	s_load_dwordx2 s[34:35], s[20:21], 0x0
	s_load_dwordx4 s[8:11], s[20:21], 0x24
	s_sub_i32 s12, s3, s2
	s_load_dword s2, s[0:1], 0xc4
	s_load_dword s51, s[0:1], 0x38
	s_mul_i32 s3, s33, s4
	v_lshrrev_b32_e32 v1, 6, v0
	s_sub_i32 s16, s22, s3
	s_waitcnt lgkmcnt(0)
	s_and_b32 s50, s2, 0xffff
	s_mul_i32 s51, s51, s17
	v_cmp_gt_i32_e32 vcc, s51, v1
	v_mov_b32_e32 v11, 0
	s_and_saveexec_b64 s[36:37], vcc
	s_cbranch_execz .LBB41_23
; %bb.2:
	s_sub_i32 s5, 0, s23
	s_mul_i32 s5, s5, s25
	s_mul_hi_u32 s5, s25, s5
	s_abs_i32 s4, s33
	s_add_i32 s25, s25, s5
	s_ashr_i32 s2, s33, 31
	s_ashr_i32 s3, s24, 31
	s_mul_hi_u32 s5, s4, s25
	s_xor_b32 s20, s2, s3
	s_mul_i32 s2, s5, s23
	s_sub_i32 s2, s4, s2
	s_lshr_b32 s52, s50, 6
	s_add_i32 s3, s5, 1
	s_sub_i32 s4, s2, s23
	s_cmp_ge_u32 s2, s23
	s_cselect_b32 s3, s3, s5
	s_cselect_b32 s2, s4, s2
	s_add_i32 s4, s3, 1
	s_cmp_ge_u32 s2, s23
	s_cselect_b32 s4, s4, s3
	s_abs_i32 s5, s17
	v_cvt_f32_u32_e32 v3, s5
	s_xor_b32 s4, s4, s20
	s_sub_i32 s42, s4, s20
	s_sub_i32 s4, 0, s5
	v_rcp_iflag_f32_e32 v3, v3
	s_load_dwordx4 s[28:31], s[0:1], 0x9c
	s_load_dwordx2 s[2:3], s[0:1], 0xac
	s_ashr_i32 s24, s17, 31
	v_and_b32_e32 v2, 63, v0
	v_mul_f32_e32 v3, 0x4f7ffffe, v3
	v_cvt_u32_f32_e32 v3, v3
	v_mul_lo_u32 v4, s4, v3
	v_mul_hi_u32 v4, v3, v4
	v_add_u32_e32 v3, v3, v4
	v_mul_hi_u32 v3, v1, v3
	v_mul_lo_u32 v4, v3, s5
	v_sub_u32_e32 v4, v1, v4
	v_add_u32_e32 v5, 1, v3
	v_cmp_le_u32_e32 vcc, s5, v4
	s_nop 1
	v_cndmask_b32_e32 v3, v3, v5, vcc
	v_subrev_u32_e32 v5, s5, v4
	v_cndmask_b32_e32 v4, v4, v5, vcc
	v_add_u32_e32 v5, 1, v3
	v_cmp_le_u32_e32 vcc, s5, v4
	s_load_dwordx2 s[4:5], s[0:1], 0x0
	s_load_dwordx4 s[20:23], s[0:1], 0x1c
	v_cndmask_b32_e32 v3, v3, v5, vcc
	v_xor_b32_e32 v3, s24, v3
	v_subrev_u32_e32 v9, s24, v3
	s_load_dwordx2 s[40:41], s[0:1], 0x30
	s_load_dwordx4 s[24:27], s[0:1], 0x4c
	s_waitcnt lgkmcnt(0)
	s_mul_i32 s38, s21, s33
	s_mul_i32 s23, s16, s31
	s_ashr_i32 s39, s38, 31
	s_sub_i32 s23, s23, s28
	s_lshl_b64 s[0:1], s[38:39], 1
	s_add_u32 s38, s4, s0
	s_mul_i32 s0, s25, s42
	s_addc_u32 s39, s5, s1
	s_ashr_i32 s1, s0, 31
	s_lshl_b64 s[0:1], s[0:1], 1
	s_add_u32 s40, s40, s0
	s_addc_u32 s41, s41, s1
	s_abs_i32 s0, s19
	v_cvt_f32_u32_e32 v4, s0
	s_mul_i32 s1, s6, s3
	s_sub_i32 s21, s1, s30
	s_mul_i32 s1, s12, s2
	v_rcp_iflag_f32_e32 v4, v4
	s_sub_i32 s2, 0, s0
	s_sub_i32 s25, s1, s29
	s_ashr_i32 s1, s19, 31
	v_mul_f32_e32 v4, 0x4f7ffffe, v4
	v_cvt_u32_f32_e32 v4, v4
	v_mul_lo_u32 v3, v9, s17
	v_sub_u32_e32 v10, v1, v3
	v_mov_b32_e32 v3, 0
	v_mul_lo_u32 v5, s2, v4
	v_mul_hi_u32 v5, v4, v5
	v_add_u32_e32 v4, v4, v5
	v_mul_hi_u32 v4, v2, v4
	v_mul_lo_u32 v5, v4, s0
	v_sub_u32_e32 v5, v2, v5
	v_add_u32_e32 v6, 1, v4
	v_cmp_le_u32_e32 vcc, s0, v5
	s_mov_b64 s[28:29], 0
	s_mov_b64 s[30:31], 0x80
	v_cndmask_b32_e32 v4, v4, v6, vcc
	v_subrev_u32_e32 v6, s0, v5
	v_cndmask_b32_e32 v5, v5, v6, vcc
	v_add_u32_e32 v6, 1, v4
	v_cmp_le_u32_e32 vcc, s0, v5
	v_mov_b32_e32 v11, v3
	s_nop 0
	v_cndmask_b32_e32 v4, v4, v6, vcc
	v_xor_b32_e32 v4, s1, v4
	v_subrev_u32_e32 v12, s1, v4
	v_mul_lo_u32 v4, v12, s19
	v_cmp_gt_i32_e32 vcc, s18, v12
	v_sub_u32_e32 v13, v2, v4
	v_lshlrev_b32_e32 v2, 1, v2
	s_branch .LBB41_6
.LBB41_3:                               ;   in Loop: Header=BB41_6 Depth=1
	s_or_b64 exec, exec, s[46:47]
.LBB41_4:                               ;   in Loop: Header=BB41_6 Depth=1
	s_or_b64 exec, exec, s[44:45]
.LBB41_5:                               ;   in Loop: Header=BB41_6 Depth=1
	s_or_b64 exec, exec, s[42:43]
	v_add_u32_e32 v1, s52, v1
	v_cmp_le_i32_e64 s[0:1], s51, v1
	s_or_b64 s[28:29], s[0:1], s[28:29]
	v_add_u32_e32 v10, s52, v10
	s_andn2_b64 exec, exec, s[28:29]
	s_cbranch_execz .LBB41_22
.LBB41_6:                               ; =>This Loop Header: Depth=1
                                        ;     Child Loop BB41_8 Depth 2
                                        ;     Child Loop BB41_14 Depth 2
                                        ;       Child Loop BB41_20 Depth 3
	v_cmp_le_i32_e64 s[0:1], s17, v10
	s_and_saveexec_b64 s[2:3], s[0:1]
	s_cbranch_execz .LBB41_10
; %bb.7:                                ;   in Loop: Header=BB41_6 Depth=1
	s_mov_b64 s[4:5], 0
.LBB41_8:                               ;   Parent Loop BB41_6 Depth=1
                                        ; =>  This Inner Loop Header: Depth=2
	v_subrev_u32_e32 v10, s17, v10
	v_cmp_gt_i32_e64 s[0:1], s17, v10
	s_or_b64 s[4:5], s[0:1], s[4:5]
	v_add_u32_e32 v9, 1, v9
	s_andn2_b64 exec, exec, s[4:5]
	s_cbranch_execnz .LBB41_8
; %bb.9:                                ;   in Loop: Header=BB41_6 Depth=1
	s_or_b64 exec, exec, s[4:5]
.LBB41_10:                              ;   in Loop: Header=BB41_6 Depth=1
	s_or_b64 exec, exec, s[2:3]
	v_mul_lo_u32 v4, v10, s11
	v_add_u32_e32 v4, s23, v4
	v_cmp_lt_i32_e64 s[0:1], -1, v4
	v_cmp_gt_i32_e64 s[2:3], s13, v4
	s_and_b64 s[0:1], s[0:1], s[2:3]
	s_and_saveexec_b64 s[42:43], s[0:1]
	s_cbranch_execz .LBB41_5
; %bb.11:                               ;   in Loop: Header=BB41_6 Depth=1
	s_and_saveexec_b64 s[44:45], vcc
	s_cbranch_execz .LBB41_4
; %bb.12:                               ;   in Loop: Header=BB41_6 Depth=1
	v_mul_lo_u32 v6, s24, v9
	v_ashrrev_i32_e32 v7, 31, v6
	v_mul_lo_u32 v4, s26, v4
	v_lshl_add_u64 v[6:7], v[6:7], 1, s[40:41]
	v_ashrrev_i32_e32 v5, 31, v4
	v_lshl_add_u64 v[4:5], v[4:5], 1, v[6:7]
	v_mul_lo_u32 v6, s20, v9
	v_ashrrev_i32_e32 v7, 31, v6
	v_mul_lo_u32 v14, s22, v10
	v_lshl_add_u64 v[6:7], v[6:7], 1, s[38:39]
	v_ashrrev_i32_e32 v15, 31, v14
	v_lshl_add_u64 v[6:7], v[14:15], 1, v[6:7]
	v_lshl_add_u64 v[6:7], v[6:7], 0, v[2:3]
	s_mov_b64 s[46:47], 0
	v_mov_b32_e32 v14, v13
	v_mov_b32_e32 v15, v12
	s_branch .LBB41_14
.LBB41_13:                              ;   in Loop: Header=BB41_14 Depth=2
	s_or_b64 exec, exec, s[2:3]
	s_waitcnt vmcnt(0)
	v_lshlrev_b32_e32 v8, 16, v16
	v_cmp_le_i32_e64 s[0:1], s18, v15
	v_lshl_add_u64 v[6:7], v[6:7], 0, s[30:31]
	s_or_b64 s[46:47], s[0:1], s[46:47]
	v_fmac_f32_e32 v11, v17, v8
	s_andn2_b64 exec, exec, s[46:47]
	s_cbranch_execz .LBB41_3
.LBB41_14:                              ;   Parent Loop BB41_6 Depth=1
                                        ; =>  This Loop Header: Depth=2
                                        ;       Child Loop BB41_20 Depth 3
	global_load_ushort v16, v[6:7], off
	v_add_u32_e32 v8, s21, v14
	v_cmp_lt_i32_e64 s[0:1], -1, v8
	v_mov_b32_e32 v17, 0
	s_and_saveexec_b64 s[48:49], s[0:1]
	s_cbranch_execz .LBB41_18
; %bb.15:                               ;   in Loop: Header=BB41_14 Depth=2
	v_add_u32_e32 v18, s25, v15
	v_cmp_gt_i32_e64 s[0:1], s15, v8
	v_cmp_gt_i32_e64 s[4:5], s14, v18
	v_cmp_lt_i32_e64 s[2:3], -1, v18
	s_and_b64 s[0:1], s[0:1], s[4:5]
	s_and_b64 s[2:3], s[0:1], s[2:3]
	v_mov_b32_e32 v17, 0
	s_and_saveexec_b64 s[0:1], s[2:3]
	s_cbranch_execz .LBB41_17
; %bb.16:                               ;   in Loop: Header=BB41_14 Depth=2
	v_mad_u64_u32 v[18:19], s[2:3], v18, s15, v[8:9]
	v_mov_b32_e32 v19, v3
	v_lshl_add_u64 v[18:19], v[18:19], 1, v[4:5]
	global_load_ushort v8, v[18:19], off
	s_waitcnt vmcnt(0)
	v_lshlrev_b32_e32 v17, 16, v8
.LBB41_17:                              ;   in Loop: Header=BB41_14 Depth=2
	s_or_b64 exec, exec, s[0:1]
.LBB41_18:                              ;   in Loop: Header=BB41_14 Depth=2
	s_or_b64 exec, exec, s[48:49]
	v_add_u32_e32 v14, 64, v14
	v_cmp_le_i32_e64 s[0:1], s19, v14
	s_and_saveexec_b64 s[2:3], s[0:1]
	s_cbranch_execz .LBB41_13
; %bb.19:                               ;   in Loop: Header=BB41_14 Depth=2
	s_mov_b64 s[4:5], 0
.LBB41_20:                              ;   Parent Loop BB41_6 Depth=1
                                        ;     Parent Loop BB41_14 Depth=2
                                        ; =>    This Inner Loop Header: Depth=3
	v_subrev_u32_e32 v14, s19, v14
	v_cmp_gt_i32_e64 s[0:1], s19, v14
	s_or_b64 s[4:5], s[0:1], s[4:5]
	v_add_u32_e32 v15, 1, v15
	s_andn2_b64 exec, exec, s[4:5]
	s_cbranch_execnz .LBB41_20
; %bb.21:                               ;   in Loop: Header=BB41_14 Depth=2
	s_or_b64 exec, exec, s[4:5]
	s_branch .LBB41_13
.LBB41_22:
	s_or_b64 exec, exec, s[28:29]
.LBB41_23:
	s_or_b64 exec, exec, s[36:37]
	v_bfe_u32 v1, v11, 16, 1
	s_movk_i32 s0, 0x7fff
	v_add3_u32 v1, v11, v1, s0
	v_cmp_o_f32_e32 vcc, v11, v11
	v_mov_b32_e32 v2, 0x7fc0
	s_bcnt1_i32_b32 s0, s50
	v_cndmask_b32_sdwa v2, v2, v1, vcc dst_sel:DWORD dst_unused:UNUSED_PAD src0_sel:DWORD src1_sel:WORD_1
	v_lshl_add_u32 v1, v0, 1, 0
	s_cmp_lg_u32 s0, 1
	s_mov_b64 s[0:1], -1
	ds_write_b16 v1, v2
	s_waitcnt lgkmcnt(0)
	s_barrier
	s_cbranch_scc1 .LBB41_33
; %bb.24:
	s_andn2_b64 vcc, exec, s[0:1]
	s_cbranch_vccnz .LBB41_32
.LBB41_25:
	s_cmp_lt_u32 s50, 2
	s_cbranch_scc1 .LBB41_30
; %bb.26:
	s_movk_i32 s2, 0x7fff
	v_mov_b32_e32 v2, 0x7fc0
	s_branch .LBB41_28
.LBB41_27:                              ;   in Loop: Header=BB41_28 Depth=1
	s_or_b64 exec, exec, s[0:1]
	s_cmp_lt_u32 s50, 4
	s_mov_b32 s50, s3
	s_waitcnt lgkmcnt(0)
	s_barrier
	s_cbranch_scc1 .LBB41_30
.LBB41_28:                              ; =>This Inner Loop Header: Depth=1
	s_lshr_b32 s3, s50, 1
	v_cmp_gt_u32_e32 vcc, s3, v0
	s_and_saveexec_b64 s[0:1], vcc
	s_cbranch_execz .LBB41_27
; %bb.29:                               ;   in Loop: Header=BB41_28 Depth=1
	v_lshl_add_u32 v3, s3, 1, v1
	ds_read_u16 v3, v3
	ds_read_u16 v4, v1
	s_waitcnt lgkmcnt(1)
	v_lshlrev_b32_e32 v3, 16, v3
	s_waitcnt lgkmcnt(0)
	v_lshlrev_b32_e32 v4, 16, v4
	v_add_f32_e32 v3, v4, v3
	v_bfe_u32 v4, v3, 16, 1
	v_cmp_o_f32_e32 vcc, v3, v3
	v_add3_u32 v3, v3, v4, s2
	s_nop 0
	v_cndmask_b32_sdwa v3, v2, v3, vcc dst_sel:DWORD dst_unused:UNUSED_PAD src0_sel:DWORD src1_sel:WORD_1
	ds_write_b16 v1, v3
	s_branch .LBB41_27
.LBB41_30:
	v_cmp_eq_u32_e32 vcc, 0, v0
	s_and_saveexec_b64 s[0:1], vcc
	s_cbranch_execz .LBB41_32
; %bb.31:
	s_mul_i32 s0, s7, s33
	s_ashr_i32 s1, s0, 31
	s_lshl_b64 s[0:1], s[0:1], 1
	s_add_u32 s2, s34, s0
	s_mul_i32 s0, s8, s16
	s_addc_u32 s3, s35, s1
	s_ashr_i32 s1, s0, 31
	s_lshl_b64 s[0:1], s[0:1], 1
	s_add_u32 s2, s2, s0
	s_mul_i32 s0, s9, s12
	s_addc_u32 s3, s3, s1
	s_ashr_i32 s1, s0, 31
	s_lshl_b64 s[0:1], s[0:1], 1
	v_mov_b32_e32 v0, 0
	s_add_u32 s2, s2, s0
	s_mul_i32 s0, s10, s6
	ds_read_u16 v1, v0
	s_addc_u32 s3, s3, s1
	s_ashr_i32 s1, s0, 31
	s_lshl_b64 s[0:1], s[0:1], 1
	s_add_u32 s0, s2, s0
	s_addc_u32 s1, s3, s1
	s_waitcnt lgkmcnt(0)
	global_store_short v0, v1, s[0:1]
.LBB41_32:
	s_endpgm
.LBB41_33:
	s_trap 2
	; divergent unreachable
	s_cbranch_execz .LBB41_25
	s_branch .LBB41_32
	.section	.rodata,"a",@progbits
	.p2align	6, 0x0
	.amdhsa_kernel _ZN2at6native12_GLOBAL__N_144conv_depthwise3d_cuda_backward_weight_kernelIN3c108BFloat16EfLi1ELi1EEEvN5torch10headeronly6detail27GenericPackedTensorAccessorINS7_14TensorAccessorINS3_8ArrayRefIlEEKT_Lm4ENS6_16DefaultPtrTraitsEiEENS_6detail16IndexBoundsCheckILm5EiEESD_Lm5ESE_iEESJ_NS8_INS9_ISB_SC_Lm4ESE_iEESI_SC_Lm5ESE_iEEiiiiiiiii
		.amdhsa_group_segment_fixed_size 0
		.amdhsa_private_segment_fixed_size 0
		.amdhsa_kernarg_size 440
		.amdhsa_user_sgpr_count 2
		.amdhsa_user_sgpr_dispatch_ptr 0
		.amdhsa_user_sgpr_queue_ptr 0
		.amdhsa_user_sgpr_kernarg_segment_ptr 1
		.amdhsa_user_sgpr_dispatch_id 0
		.amdhsa_user_sgpr_kernarg_preload_length 0
		.amdhsa_user_sgpr_kernarg_preload_offset 0
		.amdhsa_user_sgpr_private_segment_size 0
		.amdhsa_uses_dynamic_stack 0
		.amdhsa_enable_private_segment 0
		.amdhsa_system_sgpr_workgroup_id_x 1
		.amdhsa_system_sgpr_workgroup_id_y 0
		.amdhsa_system_sgpr_workgroup_id_z 0
		.amdhsa_system_sgpr_workgroup_info 0
		.amdhsa_system_vgpr_workitem_id 0
		.amdhsa_next_free_vgpr 20
		.amdhsa_next_free_sgpr 53
		.amdhsa_accum_offset 20
		.amdhsa_reserve_vcc 1
		.amdhsa_float_round_mode_32 0
		.amdhsa_float_round_mode_16_64 0
		.amdhsa_float_denorm_mode_32 3
		.amdhsa_float_denorm_mode_16_64 3
		.amdhsa_dx10_clamp 1
		.amdhsa_ieee_mode 1
		.amdhsa_fp16_overflow 0
		.amdhsa_tg_split 0
		.amdhsa_exception_fp_ieee_invalid_op 0
		.amdhsa_exception_fp_denorm_src 0
		.amdhsa_exception_fp_ieee_div_zero 0
		.amdhsa_exception_fp_ieee_overflow 0
		.amdhsa_exception_fp_ieee_underflow 0
		.amdhsa_exception_fp_ieee_inexact 0
		.amdhsa_exception_int_div_zero 0
	.end_amdhsa_kernel
	.section	.text._ZN2at6native12_GLOBAL__N_144conv_depthwise3d_cuda_backward_weight_kernelIN3c108BFloat16EfLi1ELi1EEEvN5torch10headeronly6detail27GenericPackedTensorAccessorINS7_14TensorAccessorINS3_8ArrayRefIlEEKT_Lm4ENS6_16DefaultPtrTraitsEiEENS_6detail16IndexBoundsCheckILm5EiEESD_Lm5ESE_iEESJ_NS8_INS9_ISB_SC_Lm4ESE_iEESI_SC_Lm5ESE_iEEiiiiiiiii,"axG",@progbits,_ZN2at6native12_GLOBAL__N_144conv_depthwise3d_cuda_backward_weight_kernelIN3c108BFloat16EfLi1ELi1EEEvN5torch10headeronly6detail27GenericPackedTensorAccessorINS7_14TensorAccessorINS3_8ArrayRefIlEEKT_Lm4ENS6_16DefaultPtrTraitsEiEENS_6detail16IndexBoundsCheckILm5EiEESD_Lm5ESE_iEESJ_NS8_INS9_ISB_SC_Lm4ESE_iEESI_SC_Lm5ESE_iEEiiiiiiiii,comdat
.Lfunc_end41:
	.size	_ZN2at6native12_GLOBAL__N_144conv_depthwise3d_cuda_backward_weight_kernelIN3c108BFloat16EfLi1ELi1EEEvN5torch10headeronly6detail27GenericPackedTensorAccessorINS7_14TensorAccessorINS3_8ArrayRefIlEEKT_Lm4ENS6_16DefaultPtrTraitsEiEENS_6detail16IndexBoundsCheckILm5EiEESD_Lm5ESE_iEESJ_NS8_INS9_ISB_SC_Lm4ESE_iEESI_SC_Lm5ESE_iEEiiiiiiiii, .Lfunc_end41-_ZN2at6native12_GLOBAL__N_144conv_depthwise3d_cuda_backward_weight_kernelIN3c108BFloat16EfLi1ELi1EEEvN5torch10headeronly6detail27GenericPackedTensorAccessorINS7_14TensorAccessorINS3_8ArrayRefIlEEKT_Lm4ENS6_16DefaultPtrTraitsEiEENS_6detail16IndexBoundsCheckILm5EiEESD_Lm5ESE_iEESJ_NS8_INS9_ISB_SC_Lm4ESE_iEESI_SC_Lm5ESE_iEEiiiiiiiii
                                        ; -- End function
	.set _ZN2at6native12_GLOBAL__N_144conv_depthwise3d_cuda_backward_weight_kernelIN3c108BFloat16EfLi1ELi1EEEvN5torch10headeronly6detail27GenericPackedTensorAccessorINS7_14TensorAccessorINS3_8ArrayRefIlEEKT_Lm4ENS6_16DefaultPtrTraitsEiEENS_6detail16IndexBoundsCheckILm5EiEESD_Lm5ESE_iEESJ_NS8_INS9_ISB_SC_Lm4ESE_iEESI_SC_Lm5ESE_iEEiiiiiiiii.num_vgpr, 20
	.set _ZN2at6native12_GLOBAL__N_144conv_depthwise3d_cuda_backward_weight_kernelIN3c108BFloat16EfLi1ELi1EEEvN5torch10headeronly6detail27GenericPackedTensorAccessorINS7_14TensorAccessorINS3_8ArrayRefIlEEKT_Lm4ENS6_16DefaultPtrTraitsEiEENS_6detail16IndexBoundsCheckILm5EiEESD_Lm5ESE_iEESJ_NS8_INS9_ISB_SC_Lm4ESE_iEESI_SC_Lm5ESE_iEEiiiiiiiii.num_agpr, 0
	.set _ZN2at6native12_GLOBAL__N_144conv_depthwise3d_cuda_backward_weight_kernelIN3c108BFloat16EfLi1ELi1EEEvN5torch10headeronly6detail27GenericPackedTensorAccessorINS7_14TensorAccessorINS3_8ArrayRefIlEEKT_Lm4ENS6_16DefaultPtrTraitsEiEENS_6detail16IndexBoundsCheckILm5EiEESD_Lm5ESE_iEESJ_NS8_INS9_ISB_SC_Lm4ESE_iEESI_SC_Lm5ESE_iEEiiiiiiiii.numbered_sgpr, 53
	.set _ZN2at6native12_GLOBAL__N_144conv_depthwise3d_cuda_backward_weight_kernelIN3c108BFloat16EfLi1ELi1EEEvN5torch10headeronly6detail27GenericPackedTensorAccessorINS7_14TensorAccessorINS3_8ArrayRefIlEEKT_Lm4ENS6_16DefaultPtrTraitsEiEENS_6detail16IndexBoundsCheckILm5EiEESD_Lm5ESE_iEESJ_NS8_INS9_ISB_SC_Lm4ESE_iEESI_SC_Lm5ESE_iEEiiiiiiiii.num_named_barrier, 0
	.set _ZN2at6native12_GLOBAL__N_144conv_depthwise3d_cuda_backward_weight_kernelIN3c108BFloat16EfLi1ELi1EEEvN5torch10headeronly6detail27GenericPackedTensorAccessorINS7_14TensorAccessorINS3_8ArrayRefIlEEKT_Lm4ENS6_16DefaultPtrTraitsEiEENS_6detail16IndexBoundsCheckILm5EiEESD_Lm5ESE_iEESJ_NS8_INS9_ISB_SC_Lm4ESE_iEESI_SC_Lm5ESE_iEEiiiiiiiii.private_seg_size, 0
	.set _ZN2at6native12_GLOBAL__N_144conv_depthwise3d_cuda_backward_weight_kernelIN3c108BFloat16EfLi1ELi1EEEvN5torch10headeronly6detail27GenericPackedTensorAccessorINS7_14TensorAccessorINS3_8ArrayRefIlEEKT_Lm4ENS6_16DefaultPtrTraitsEiEENS_6detail16IndexBoundsCheckILm5EiEESD_Lm5ESE_iEESJ_NS8_INS9_ISB_SC_Lm4ESE_iEESI_SC_Lm5ESE_iEEiiiiiiiii.uses_vcc, 1
	.set _ZN2at6native12_GLOBAL__N_144conv_depthwise3d_cuda_backward_weight_kernelIN3c108BFloat16EfLi1ELi1EEEvN5torch10headeronly6detail27GenericPackedTensorAccessorINS7_14TensorAccessorINS3_8ArrayRefIlEEKT_Lm4ENS6_16DefaultPtrTraitsEiEENS_6detail16IndexBoundsCheckILm5EiEESD_Lm5ESE_iEESJ_NS8_INS9_ISB_SC_Lm4ESE_iEESI_SC_Lm5ESE_iEEiiiiiiiii.uses_flat_scratch, 0
	.set _ZN2at6native12_GLOBAL__N_144conv_depthwise3d_cuda_backward_weight_kernelIN3c108BFloat16EfLi1ELi1EEEvN5torch10headeronly6detail27GenericPackedTensorAccessorINS7_14TensorAccessorINS3_8ArrayRefIlEEKT_Lm4ENS6_16DefaultPtrTraitsEiEENS_6detail16IndexBoundsCheckILm5EiEESD_Lm5ESE_iEESJ_NS8_INS9_ISB_SC_Lm4ESE_iEESI_SC_Lm5ESE_iEEiiiiiiiii.has_dyn_sized_stack, 0
	.set _ZN2at6native12_GLOBAL__N_144conv_depthwise3d_cuda_backward_weight_kernelIN3c108BFloat16EfLi1ELi1EEEvN5torch10headeronly6detail27GenericPackedTensorAccessorINS7_14TensorAccessorINS3_8ArrayRefIlEEKT_Lm4ENS6_16DefaultPtrTraitsEiEENS_6detail16IndexBoundsCheckILm5EiEESD_Lm5ESE_iEESJ_NS8_INS9_ISB_SC_Lm4ESE_iEESI_SC_Lm5ESE_iEEiiiiiiiii.has_recursion, 0
	.set _ZN2at6native12_GLOBAL__N_144conv_depthwise3d_cuda_backward_weight_kernelIN3c108BFloat16EfLi1ELi1EEEvN5torch10headeronly6detail27GenericPackedTensorAccessorINS7_14TensorAccessorINS3_8ArrayRefIlEEKT_Lm4ENS6_16DefaultPtrTraitsEiEENS_6detail16IndexBoundsCheckILm5EiEESD_Lm5ESE_iEESJ_NS8_INS9_ISB_SC_Lm4ESE_iEESI_SC_Lm5ESE_iEEiiiiiiiii.has_indirect_call, 0
	.section	.AMDGPU.csdata,"",@progbits
; Kernel info:
; codeLenInByte = 1900
; TotalNumSgprs: 59
; NumVgprs: 20
; NumAgprs: 0
; TotalNumVgprs: 20
; ScratchSize: 0
; MemoryBound: 0
; FloatMode: 240
; IeeeMode: 1
; LDSByteSize: 0 bytes/workgroup (compile time only)
; SGPRBlocks: 7
; VGPRBlocks: 2
; NumSGPRsForWavesPerEU: 59
; NumVGPRsForWavesPerEU: 20
; AccumOffset: 20
; Occupancy: 8
; WaveLimiterHint : 1
; COMPUTE_PGM_RSRC2:SCRATCH_EN: 0
; COMPUTE_PGM_RSRC2:USER_SGPR: 2
; COMPUTE_PGM_RSRC2:TRAP_HANDLER: 0
; COMPUTE_PGM_RSRC2:TGID_X_EN: 1
; COMPUTE_PGM_RSRC2:TGID_Y_EN: 0
; COMPUTE_PGM_RSRC2:TGID_Z_EN: 0
; COMPUTE_PGM_RSRC2:TIDIG_COMP_CNT: 0
; COMPUTE_PGM_RSRC3_GFX90A:ACCUM_OFFSET: 4
; COMPUTE_PGM_RSRC3_GFX90A:TG_SPLIT: 0
	.section	.text._ZN2at6native12_GLOBAL__N_144conv_depthwise3d_cuda_backward_weight_kernelIN3c108BFloat16EfLi2ELi2EEEvN5torch10headeronly6detail27GenericPackedTensorAccessorINS7_14TensorAccessorINS3_8ArrayRefIlEEKT_Lm4ENS6_16DefaultPtrTraitsEiEENS_6detail16IndexBoundsCheckILm5EiEESD_Lm5ESE_iEESJ_NS8_INS9_ISB_SC_Lm4ESE_iEESI_SC_Lm5ESE_iEEiiiiiiiii,"axG",@progbits,_ZN2at6native12_GLOBAL__N_144conv_depthwise3d_cuda_backward_weight_kernelIN3c108BFloat16EfLi2ELi2EEEvN5torch10headeronly6detail27GenericPackedTensorAccessorINS7_14TensorAccessorINS3_8ArrayRefIlEEKT_Lm4ENS6_16DefaultPtrTraitsEiEENS_6detail16IndexBoundsCheckILm5EiEESD_Lm5ESE_iEESJ_NS8_INS9_ISB_SC_Lm4ESE_iEESI_SC_Lm5ESE_iEEiiiiiiiii,comdat
	.globl	_ZN2at6native12_GLOBAL__N_144conv_depthwise3d_cuda_backward_weight_kernelIN3c108BFloat16EfLi2ELi2EEEvN5torch10headeronly6detail27GenericPackedTensorAccessorINS7_14TensorAccessorINS3_8ArrayRefIlEEKT_Lm4ENS6_16DefaultPtrTraitsEiEENS_6detail16IndexBoundsCheckILm5EiEESD_Lm5ESE_iEESJ_NS8_INS9_ISB_SC_Lm4ESE_iEESI_SC_Lm5ESE_iEEiiiiiiiii ; -- Begin function _ZN2at6native12_GLOBAL__N_144conv_depthwise3d_cuda_backward_weight_kernelIN3c108BFloat16EfLi2ELi2EEEvN5torch10headeronly6detail27GenericPackedTensorAccessorINS7_14TensorAccessorINS3_8ArrayRefIlEEKT_Lm4ENS6_16DefaultPtrTraitsEiEENS_6detail16IndexBoundsCheckILm5EiEESD_Lm5ESE_iEESJ_NS8_INS9_ISB_SC_Lm4ESE_iEESI_SC_Lm5ESE_iEEiiiiiiiii
	.p2align	8
	.type	_ZN2at6native12_GLOBAL__N_144conv_depthwise3d_cuda_backward_weight_kernelIN3c108BFloat16EfLi2ELi2EEEvN5torch10headeronly6detail27GenericPackedTensorAccessorINS7_14TensorAccessorINS3_8ArrayRefIlEEKT_Lm4ENS6_16DefaultPtrTraitsEiEENS_6detail16IndexBoundsCheckILm5EiEESD_Lm5ESE_iEESJ_NS8_INS9_ISB_SC_Lm4ESE_iEESI_SC_Lm5ESE_iEEiiiiiiiii,@function
_ZN2at6native12_GLOBAL__N_144conv_depthwise3d_cuda_backward_weight_kernelIN3c108BFloat16EfLi2ELi2EEEvN5torch10headeronly6detail27GenericPackedTensorAccessorINS7_14TensorAccessorINS3_8ArrayRefIlEEKT_Lm4ENS6_16DefaultPtrTraitsEiEENS_6detail16IndexBoundsCheckILm5EiEESD_Lm5ESE_iEESJ_NS8_INS9_ISB_SC_Lm4ESE_iEESI_SC_Lm5ESE_iEEiiiiiiiii: ; @_ZN2at6native12_GLOBAL__N_144conv_depthwise3d_cuda_backward_weight_kernelIN3c108BFloat16EfLi2ELi2EEEvN5torch10headeronly6detail27GenericPackedTensorAccessorINS7_14TensorAccessorINS3_8ArrayRefIlEEKT_Lm4ENS6_16DefaultPtrTraitsEiEENS_6detail16IndexBoundsCheckILm5EiEESD_Lm5ESE_iEESJ_NS8_INS9_ISB_SC_Lm4ESE_iEESI_SC_Lm5ESE_iEEiiiiiiiii
; %bb.0:
	s_load_dwordx4 s[4:7], s[0:1], 0x70
	s_add_u32 s20, s0, 0x60
	s_addc_u32 s21, s1, 0
	s_load_dwordx4 s[12:15], s[0:1], 0x3c
	s_load_dwordx4 s[16:19], s[0:1], 0xc
	s_waitcnt lgkmcnt(0)
	v_cvt_f32_u32_e32 v1, s6
	v_cvt_f32_u32_e32 v2, s5
	s_sub_i32 s3, 0, s6
	v_rcp_iflag_f32_e32 v1, v1
	v_rcp_iflag_f32_e32 v2, v2
	v_mul_f32_e32 v1, 0x4f7ffffe, v1
	v_cvt_u32_f32_e32 v1, v1
	v_mul_f32_e32 v2, 0x4f7ffffe, v2
	v_cvt_u32_f32_e32 v2, v2
	v_readfirstlane_b32 s8, v1
	s_mul_i32 s3, s3, s8
	s_mul_hi_u32 s3, s8, s3
	s_add_i32 s8, s8, s3
	s_mul_hi_u32 s3, s2, s8
	s_mul_i32 s8, s3, s6
	s_sub_i32 s8, s2, s8
	s_add_i32 s10, s3, 1
	s_sub_i32 s11, s8, s6
	s_cmp_ge_u32 s8, s6
	s_cselect_b32 s3, s10, s3
	s_cselect_b32 s8, s11, s8
	s_add_i32 s10, s3, 1
	s_cmp_ge_u32 s8, s6
	v_cvt_f32_u32_e32 v1, s4
	v_readfirstlane_b32 s9, v2
	s_cselect_b32 s3, s10, s3
	s_sub_i32 s8, 0, s5
	s_mul_i32 s8, s8, s9
	s_mul_hi_u32 s8, s9, s8
	s_add_i32 s9, s9, s8
	v_rcp_iflag_f32_e32 v1, v1
	s_mul_hi_u32 s8, s3, s9
	s_mul_i32 s9, s8, s5
	s_sub_i32 s9, s3, s9
	s_add_i32 s10, s8, 1
	s_sub_i32 s11, s9, s5
	v_mul_f32_e32 v1, 0x4f7ffffe, v1
	s_cmp_ge_u32 s9, s5
	v_cvt_u32_f32_e32 v1, v1
	s_cselect_b32 s8, s10, s8
	s_cselect_b32 s9, s11, s9
	s_add_i32 s10, s8, 1
	s_cmp_ge_u32 s9, s5
	s_cselect_b32 s22, s10, s8
	s_sub_i32 s8, 0, s4
	v_readfirstlane_b32 s9, v1
	s_mul_i32 s8, s8, s9
	s_mul_hi_u32 s8, s9, s8
	s_add_i32 s9, s9, s8
	s_mul_hi_u32 s8, s22, s9
	s_mul_i32 s9, s8, s4
	s_sub_i32 s9, s22, s9
	s_add_i32 s10, s8, 1
	s_sub_i32 s11, s9, s4
	s_cmp_ge_u32 s9, s4
	s_cselect_b32 s8, s10, s8
	s_cselect_b32 s9, s11, s9
	s_add_i32 s10, s8, 1
	s_cmp_ge_u32 s9, s4
	s_cselect_b32 s33, s10, s8
	s_abs_i32 s8, s12
	v_cvt_f32_u32_e32 v1, s8
	s_xor_b32 s9, s16, s12
	s_sub_i32 s11, 0, s8
	s_abs_i32 s10, s16
	v_rcp_iflag_f32_e32 v1, v1
	s_ashr_i32 s9, s9, 31
	v_mul_f32_e32 v1, 0x4f7ffffe, v1
	v_cvt_u32_f32_e32 v1, v1
	s_nop 0
	v_readfirstlane_b32 s12, v1
	s_mul_i32 s11, s11, s12
	s_mul_hi_u32 s11, s12, s11
	s_add_i32 s12, s12, s11
	s_mul_hi_u32 s11, s10, s12
	s_mul_i32 s12, s11, s8
	s_sub_i32 s10, s10, s12
	s_add_i32 s12, s11, 1
	s_sub_i32 s16, s10, s8
	s_cmp_ge_u32 s10, s8
	s_cselect_b32 s11, s12, s11
	s_cselect_b32 s10, s16, s10
	s_add_i32 s12, s11, 1
	s_cmp_ge_u32 s10, s8
	s_cselect_b32 s8, s12, s11
	s_xor_b32 s8, s8, s9
	s_sub_i32 s24, s8, s9
	s_abs_i32 s23, s24
	v_cvt_f32_u32_e32 v1, s23
	s_load_dword s8, s[0:1], 0x68
	v_rcp_iflag_f32_e32 v1, v1
	s_waitcnt lgkmcnt(0)
	s_cmp_ge_i32 s33, s8
	v_mul_f32_e32 v1, 0x4f7ffffe, v1
	v_cvt_u32_f32_e32 v1, v1
	s_nop 0
	v_readfirstlane_b32 s25, v1
	s_cbranch_scc1 .LBB42_32
; %bb.1:
	s_mul_i32 s6, s3, s6
	s_sub_i32 s6, s2, s6
	s_mul_i32 s2, s22, s5
	s_load_dwordx2 s[34:35], s[20:21], 0x0
	s_load_dwordx4 s[8:11], s[20:21], 0x24
	s_sub_i32 s12, s3, s2
	s_load_dword s2, s[0:1], 0xc4
	s_load_dword s51, s[0:1], 0x38
	s_mul_i32 s3, s33, s4
	v_lshrrev_b32_e32 v1, 6, v0
	s_sub_i32 s16, s22, s3
	s_waitcnt lgkmcnt(0)
	s_and_b32 s50, s2, 0xffff
	s_mul_i32 s51, s51, s17
	v_cmp_gt_i32_e32 vcc, s51, v1
	v_mov_b32_e32 v11, 0
	s_and_saveexec_b64 s[36:37], vcc
	s_cbranch_execz .LBB42_23
; %bb.2:
	s_sub_i32 s5, 0, s23
	s_mul_i32 s5, s5, s25
	s_mul_hi_u32 s5, s25, s5
	s_abs_i32 s4, s33
	s_add_i32 s25, s25, s5
	s_ashr_i32 s2, s33, 31
	s_ashr_i32 s3, s24, 31
	s_mul_hi_u32 s5, s4, s25
	s_xor_b32 s20, s2, s3
	s_mul_i32 s2, s5, s23
	s_sub_i32 s2, s4, s2
	s_lshr_b32 s52, s50, 6
	s_add_i32 s3, s5, 1
	s_sub_i32 s4, s2, s23
	s_cmp_ge_u32 s2, s23
	s_cselect_b32 s3, s3, s5
	s_cselect_b32 s2, s4, s2
	s_add_i32 s4, s3, 1
	s_cmp_ge_u32 s2, s23
	s_cselect_b32 s4, s4, s3
	s_abs_i32 s5, s17
	v_cvt_f32_u32_e32 v3, s5
	s_xor_b32 s4, s4, s20
	s_sub_i32 s42, s4, s20
	s_sub_i32 s4, 0, s5
	v_rcp_iflag_f32_e32 v3, v3
	s_load_dwordx4 s[28:31], s[0:1], 0x9c
	s_load_dwordx2 s[2:3], s[0:1], 0xac
	s_ashr_i32 s24, s17, 31
	v_and_b32_e32 v2, 63, v0
	v_mul_f32_e32 v3, 0x4f7ffffe, v3
	v_cvt_u32_f32_e32 v3, v3
	v_mul_lo_u32 v4, s4, v3
	v_mul_hi_u32 v4, v3, v4
	v_add_u32_e32 v3, v3, v4
	v_mul_hi_u32 v3, v1, v3
	v_mul_lo_u32 v4, v3, s5
	v_sub_u32_e32 v4, v1, v4
	v_add_u32_e32 v5, 1, v3
	v_cmp_le_u32_e32 vcc, s5, v4
	s_nop 1
	v_cndmask_b32_e32 v3, v3, v5, vcc
	v_subrev_u32_e32 v5, s5, v4
	v_cndmask_b32_e32 v4, v4, v5, vcc
	v_add_u32_e32 v5, 1, v3
	v_cmp_le_u32_e32 vcc, s5, v4
	s_load_dwordx2 s[4:5], s[0:1], 0x0
	s_load_dwordx4 s[20:23], s[0:1], 0x1c
	v_cndmask_b32_e32 v3, v3, v5, vcc
	v_xor_b32_e32 v3, s24, v3
	v_subrev_u32_e32 v9, s24, v3
	s_load_dwordx2 s[40:41], s[0:1], 0x30
	s_load_dwordx4 s[24:27], s[0:1], 0x4c
	s_waitcnt lgkmcnt(0)
	s_mul_i32 s38, s21, s33
	s_mul_i32 s23, s16, s31
	s_ashr_i32 s39, s38, 31
	s_sub_i32 s23, s23, s28
	s_lshl_b64 s[0:1], s[38:39], 1
	s_add_u32 s38, s4, s0
	s_mul_i32 s0, s25, s42
	s_addc_u32 s39, s5, s1
	s_ashr_i32 s1, s0, 31
	s_lshl_b64 s[0:1], s[0:1], 1
	s_add_u32 s40, s40, s0
	s_addc_u32 s41, s41, s1
	s_abs_i32 s0, s19
	v_cvt_f32_u32_e32 v4, s0
	s_mul_i32 s1, s6, s3
	s_sub_i32 s21, s1, s30
	s_mul_i32 s1, s12, s2
	v_rcp_iflag_f32_e32 v4, v4
	s_sub_i32 s2, 0, s0
	s_sub_i32 s25, s1, s29
	s_ashr_i32 s1, s19, 31
	v_mul_f32_e32 v4, 0x4f7ffffe, v4
	v_cvt_u32_f32_e32 v4, v4
	v_mul_lo_u32 v3, v9, s17
	v_sub_u32_e32 v10, v1, v3
	v_mov_b32_e32 v3, 0
	v_mul_lo_u32 v5, s2, v4
	v_mul_hi_u32 v5, v4, v5
	v_add_u32_e32 v4, v4, v5
	v_mul_hi_u32 v4, v2, v4
	v_mul_lo_u32 v5, v4, s0
	v_sub_u32_e32 v5, v2, v5
	v_add_u32_e32 v6, 1, v4
	v_cmp_le_u32_e32 vcc, s0, v5
	s_mov_b64 s[28:29], 0
	s_mov_b64 s[30:31], 0x80
	v_cndmask_b32_e32 v4, v4, v6, vcc
	v_subrev_u32_e32 v6, s0, v5
	v_cndmask_b32_e32 v5, v5, v6, vcc
	v_add_u32_e32 v6, 1, v4
	v_cmp_le_u32_e32 vcc, s0, v5
	v_mov_b32_e32 v11, v3
	s_nop 0
	v_cndmask_b32_e32 v4, v4, v6, vcc
	v_xor_b32_e32 v4, s1, v4
	v_subrev_u32_e32 v12, s1, v4
	v_mul_lo_u32 v4, v12, s19
	v_cmp_gt_i32_e32 vcc, s18, v12
	v_sub_u32_e32 v13, v2, v4
	v_lshlrev_b32_e32 v2, 1, v2
	s_branch .LBB42_6
.LBB42_3:                               ;   in Loop: Header=BB42_6 Depth=1
	s_or_b64 exec, exec, s[46:47]
.LBB42_4:                               ;   in Loop: Header=BB42_6 Depth=1
	s_or_b64 exec, exec, s[44:45]
.LBB42_5:                               ;   in Loop: Header=BB42_6 Depth=1
	s_or_b64 exec, exec, s[42:43]
	v_add_u32_e32 v1, s52, v1
	v_cmp_le_i32_e64 s[0:1], s51, v1
	s_or_b64 s[28:29], s[0:1], s[28:29]
	v_add_u32_e32 v10, s52, v10
	s_andn2_b64 exec, exec, s[28:29]
	s_cbranch_execz .LBB42_22
.LBB42_6:                               ; =>This Loop Header: Depth=1
                                        ;     Child Loop BB42_8 Depth 2
                                        ;     Child Loop BB42_14 Depth 2
                                        ;       Child Loop BB42_20 Depth 3
	v_cmp_le_i32_e64 s[0:1], s17, v10
	s_and_saveexec_b64 s[2:3], s[0:1]
	s_cbranch_execz .LBB42_10
; %bb.7:                                ;   in Loop: Header=BB42_6 Depth=1
	s_mov_b64 s[4:5], 0
.LBB42_8:                               ;   Parent Loop BB42_6 Depth=1
                                        ; =>  This Inner Loop Header: Depth=2
	v_subrev_u32_e32 v10, s17, v10
	v_cmp_gt_i32_e64 s[0:1], s17, v10
	s_or_b64 s[4:5], s[0:1], s[4:5]
	v_add_u32_e32 v9, 1, v9
	s_andn2_b64 exec, exec, s[4:5]
	s_cbranch_execnz .LBB42_8
; %bb.9:                                ;   in Loop: Header=BB42_6 Depth=1
	s_or_b64 exec, exec, s[4:5]
.LBB42_10:                              ;   in Loop: Header=BB42_6 Depth=1
	s_or_b64 exec, exec, s[2:3]
	v_mul_lo_u32 v4, v10, s11
	v_add_u32_e32 v4, s23, v4
	v_cmp_lt_i32_e64 s[0:1], -1, v4
	v_cmp_gt_i32_e64 s[2:3], s13, v4
	s_and_b64 s[0:1], s[0:1], s[2:3]
	s_and_saveexec_b64 s[42:43], s[0:1]
	s_cbranch_execz .LBB42_5
; %bb.11:                               ;   in Loop: Header=BB42_6 Depth=1
	s_and_saveexec_b64 s[44:45], vcc
	s_cbranch_execz .LBB42_4
; %bb.12:                               ;   in Loop: Header=BB42_6 Depth=1
	v_mul_lo_u32 v6, s24, v9
	v_ashrrev_i32_e32 v7, 31, v6
	v_mul_lo_u32 v4, s26, v4
	v_lshl_add_u64 v[6:7], v[6:7], 1, s[40:41]
	v_ashrrev_i32_e32 v5, 31, v4
	v_lshl_add_u64 v[4:5], v[4:5], 1, v[6:7]
	v_mul_lo_u32 v6, s20, v9
	v_ashrrev_i32_e32 v7, 31, v6
	v_mul_lo_u32 v14, s22, v10
	v_lshl_add_u64 v[6:7], v[6:7], 1, s[38:39]
	v_ashrrev_i32_e32 v15, 31, v14
	v_lshl_add_u64 v[6:7], v[14:15], 1, v[6:7]
	v_lshl_add_u64 v[6:7], v[6:7], 0, v[2:3]
	s_mov_b64 s[46:47], 0
	v_mov_b32_e32 v14, v13
	v_mov_b32_e32 v15, v12
	s_branch .LBB42_14
.LBB42_13:                              ;   in Loop: Header=BB42_14 Depth=2
	s_or_b64 exec, exec, s[2:3]
	s_waitcnt vmcnt(0)
	v_lshlrev_b32_e32 v8, 16, v16
	v_cmp_le_i32_e64 s[0:1], s18, v15
	v_lshl_add_u64 v[6:7], v[6:7], 0, s[30:31]
	s_or_b64 s[46:47], s[0:1], s[46:47]
	v_fmac_f32_e32 v11, v17, v8
	s_andn2_b64 exec, exec, s[46:47]
	s_cbranch_execz .LBB42_3
.LBB42_14:                              ;   Parent Loop BB42_6 Depth=1
                                        ; =>  This Loop Header: Depth=2
                                        ;       Child Loop BB42_20 Depth 3
	global_load_ushort v16, v[6:7], off
	v_lshl_add_u32 v8, v14, 1, s21
	v_cmp_lt_i32_e64 s[0:1], -1, v8
	v_mov_b32_e32 v17, 0
	s_and_saveexec_b64 s[48:49], s[0:1]
	s_cbranch_execz .LBB42_18
; %bb.15:                               ;   in Loop: Header=BB42_14 Depth=2
	v_lshl_add_u32 v18, v15, 1, s25
	v_cmp_gt_i32_e64 s[0:1], s15, v8
	v_cmp_gt_i32_e64 s[4:5], s14, v18
	v_cmp_lt_i32_e64 s[2:3], -1, v18
	s_and_b64 s[0:1], s[0:1], s[4:5]
	s_and_b64 s[2:3], s[0:1], s[2:3]
	v_mov_b32_e32 v17, 0
	s_and_saveexec_b64 s[0:1], s[2:3]
	s_cbranch_execz .LBB42_17
; %bb.16:                               ;   in Loop: Header=BB42_14 Depth=2
	v_mad_u64_u32 v[18:19], s[2:3], v18, s15, v[8:9]
	v_mov_b32_e32 v19, v3
	v_lshl_add_u64 v[18:19], v[18:19], 1, v[4:5]
	global_load_ushort v8, v[18:19], off
	s_waitcnt vmcnt(0)
	v_lshlrev_b32_e32 v17, 16, v8
.LBB42_17:                              ;   in Loop: Header=BB42_14 Depth=2
	s_or_b64 exec, exec, s[0:1]
.LBB42_18:                              ;   in Loop: Header=BB42_14 Depth=2
	s_or_b64 exec, exec, s[48:49]
	v_add_u32_e32 v14, 64, v14
	v_cmp_le_i32_e64 s[0:1], s19, v14
	s_and_saveexec_b64 s[2:3], s[0:1]
	s_cbranch_execz .LBB42_13
; %bb.19:                               ;   in Loop: Header=BB42_14 Depth=2
	s_mov_b64 s[4:5], 0
.LBB42_20:                              ;   Parent Loop BB42_6 Depth=1
                                        ;     Parent Loop BB42_14 Depth=2
                                        ; =>    This Inner Loop Header: Depth=3
	v_subrev_u32_e32 v14, s19, v14
	v_cmp_gt_i32_e64 s[0:1], s19, v14
	s_or_b64 s[4:5], s[0:1], s[4:5]
	v_add_u32_e32 v15, 1, v15
	s_andn2_b64 exec, exec, s[4:5]
	s_cbranch_execnz .LBB42_20
; %bb.21:                               ;   in Loop: Header=BB42_14 Depth=2
	s_or_b64 exec, exec, s[4:5]
	s_branch .LBB42_13
.LBB42_22:
	s_or_b64 exec, exec, s[28:29]
.LBB42_23:
	s_or_b64 exec, exec, s[36:37]
	v_bfe_u32 v1, v11, 16, 1
	s_movk_i32 s0, 0x7fff
	v_add3_u32 v1, v11, v1, s0
	v_cmp_o_f32_e32 vcc, v11, v11
	v_mov_b32_e32 v2, 0x7fc0
	s_bcnt1_i32_b32 s0, s50
	v_cndmask_b32_sdwa v2, v2, v1, vcc dst_sel:DWORD dst_unused:UNUSED_PAD src0_sel:DWORD src1_sel:WORD_1
	v_lshl_add_u32 v1, v0, 1, 0
	s_cmp_lg_u32 s0, 1
	s_mov_b64 s[0:1], -1
	ds_write_b16 v1, v2
	s_waitcnt lgkmcnt(0)
	s_barrier
	s_cbranch_scc1 .LBB42_33
; %bb.24:
	s_andn2_b64 vcc, exec, s[0:1]
	s_cbranch_vccnz .LBB42_32
.LBB42_25:
	s_cmp_lt_u32 s50, 2
	s_cbranch_scc1 .LBB42_30
; %bb.26:
	s_movk_i32 s2, 0x7fff
	v_mov_b32_e32 v2, 0x7fc0
	s_branch .LBB42_28
.LBB42_27:                              ;   in Loop: Header=BB42_28 Depth=1
	s_or_b64 exec, exec, s[0:1]
	s_cmp_lt_u32 s50, 4
	s_mov_b32 s50, s3
	s_waitcnt lgkmcnt(0)
	s_barrier
	s_cbranch_scc1 .LBB42_30
.LBB42_28:                              ; =>This Inner Loop Header: Depth=1
	s_lshr_b32 s3, s50, 1
	v_cmp_gt_u32_e32 vcc, s3, v0
	s_and_saveexec_b64 s[0:1], vcc
	s_cbranch_execz .LBB42_27
; %bb.29:                               ;   in Loop: Header=BB42_28 Depth=1
	v_lshl_add_u32 v3, s3, 1, v1
	ds_read_u16 v3, v3
	ds_read_u16 v4, v1
	s_waitcnt lgkmcnt(1)
	v_lshlrev_b32_e32 v3, 16, v3
	s_waitcnt lgkmcnt(0)
	v_lshlrev_b32_e32 v4, 16, v4
	v_add_f32_e32 v3, v4, v3
	v_bfe_u32 v4, v3, 16, 1
	v_cmp_o_f32_e32 vcc, v3, v3
	v_add3_u32 v3, v3, v4, s2
	s_nop 0
	v_cndmask_b32_sdwa v3, v2, v3, vcc dst_sel:DWORD dst_unused:UNUSED_PAD src0_sel:DWORD src1_sel:WORD_1
	ds_write_b16 v1, v3
	s_branch .LBB42_27
.LBB42_30:
	v_cmp_eq_u32_e32 vcc, 0, v0
	s_and_saveexec_b64 s[0:1], vcc
	s_cbranch_execz .LBB42_32
; %bb.31:
	s_mul_i32 s0, s7, s33
	s_ashr_i32 s1, s0, 31
	s_lshl_b64 s[0:1], s[0:1], 1
	s_add_u32 s2, s34, s0
	s_mul_i32 s0, s8, s16
	s_addc_u32 s3, s35, s1
	s_ashr_i32 s1, s0, 31
	s_lshl_b64 s[0:1], s[0:1], 1
	s_add_u32 s2, s2, s0
	s_mul_i32 s0, s9, s12
	s_addc_u32 s3, s3, s1
	s_ashr_i32 s1, s0, 31
	s_lshl_b64 s[0:1], s[0:1], 1
	v_mov_b32_e32 v0, 0
	s_add_u32 s2, s2, s0
	s_mul_i32 s0, s10, s6
	ds_read_u16 v1, v0
	s_addc_u32 s3, s3, s1
	s_ashr_i32 s1, s0, 31
	s_lshl_b64 s[0:1], s[0:1], 1
	s_add_u32 s0, s2, s0
	s_addc_u32 s1, s3, s1
	s_waitcnt lgkmcnt(0)
	global_store_short v0, v1, s[0:1]
.LBB42_32:
	s_endpgm
.LBB42_33:
	s_trap 2
	; divergent unreachable
	s_cbranch_execz .LBB42_25
	s_branch .LBB42_32
	.section	.rodata,"a",@progbits
	.p2align	6, 0x0
	.amdhsa_kernel _ZN2at6native12_GLOBAL__N_144conv_depthwise3d_cuda_backward_weight_kernelIN3c108BFloat16EfLi2ELi2EEEvN5torch10headeronly6detail27GenericPackedTensorAccessorINS7_14TensorAccessorINS3_8ArrayRefIlEEKT_Lm4ENS6_16DefaultPtrTraitsEiEENS_6detail16IndexBoundsCheckILm5EiEESD_Lm5ESE_iEESJ_NS8_INS9_ISB_SC_Lm4ESE_iEESI_SC_Lm5ESE_iEEiiiiiiiii
		.amdhsa_group_segment_fixed_size 0
		.amdhsa_private_segment_fixed_size 0
		.amdhsa_kernarg_size 440
		.amdhsa_user_sgpr_count 2
		.amdhsa_user_sgpr_dispatch_ptr 0
		.amdhsa_user_sgpr_queue_ptr 0
		.amdhsa_user_sgpr_kernarg_segment_ptr 1
		.amdhsa_user_sgpr_dispatch_id 0
		.amdhsa_user_sgpr_kernarg_preload_length 0
		.amdhsa_user_sgpr_kernarg_preload_offset 0
		.amdhsa_user_sgpr_private_segment_size 0
		.amdhsa_uses_dynamic_stack 0
		.amdhsa_enable_private_segment 0
		.amdhsa_system_sgpr_workgroup_id_x 1
		.amdhsa_system_sgpr_workgroup_id_y 0
		.amdhsa_system_sgpr_workgroup_id_z 0
		.amdhsa_system_sgpr_workgroup_info 0
		.amdhsa_system_vgpr_workitem_id 0
		.amdhsa_next_free_vgpr 20
		.amdhsa_next_free_sgpr 53
		.amdhsa_accum_offset 20
		.amdhsa_reserve_vcc 1
		.amdhsa_float_round_mode_32 0
		.amdhsa_float_round_mode_16_64 0
		.amdhsa_float_denorm_mode_32 3
		.amdhsa_float_denorm_mode_16_64 3
		.amdhsa_dx10_clamp 1
		.amdhsa_ieee_mode 1
		.amdhsa_fp16_overflow 0
		.amdhsa_tg_split 0
		.amdhsa_exception_fp_ieee_invalid_op 0
		.amdhsa_exception_fp_denorm_src 0
		.amdhsa_exception_fp_ieee_div_zero 0
		.amdhsa_exception_fp_ieee_overflow 0
		.amdhsa_exception_fp_ieee_underflow 0
		.amdhsa_exception_fp_ieee_inexact 0
		.amdhsa_exception_int_div_zero 0
	.end_amdhsa_kernel
	.section	.text._ZN2at6native12_GLOBAL__N_144conv_depthwise3d_cuda_backward_weight_kernelIN3c108BFloat16EfLi2ELi2EEEvN5torch10headeronly6detail27GenericPackedTensorAccessorINS7_14TensorAccessorINS3_8ArrayRefIlEEKT_Lm4ENS6_16DefaultPtrTraitsEiEENS_6detail16IndexBoundsCheckILm5EiEESD_Lm5ESE_iEESJ_NS8_INS9_ISB_SC_Lm4ESE_iEESI_SC_Lm5ESE_iEEiiiiiiiii,"axG",@progbits,_ZN2at6native12_GLOBAL__N_144conv_depthwise3d_cuda_backward_weight_kernelIN3c108BFloat16EfLi2ELi2EEEvN5torch10headeronly6detail27GenericPackedTensorAccessorINS7_14TensorAccessorINS3_8ArrayRefIlEEKT_Lm4ENS6_16DefaultPtrTraitsEiEENS_6detail16IndexBoundsCheckILm5EiEESD_Lm5ESE_iEESJ_NS8_INS9_ISB_SC_Lm4ESE_iEESI_SC_Lm5ESE_iEEiiiiiiiii,comdat
.Lfunc_end42:
	.size	_ZN2at6native12_GLOBAL__N_144conv_depthwise3d_cuda_backward_weight_kernelIN3c108BFloat16EfLi2ELi2EEEvN5torch10headeronly6detail27GenericPackedTensorAccessorINS7_14TensorAccessorINS3_8ArrayRefIlEEKT_Lm4ENS6_16DefaultPtrTraitsEiEENS_6detail16IndexBoundsCheckILm5EiEESD_Lm5ESE_iEESJ_NS8_INS9_ISB_SC_Lm4ESE_iEESI_SC_Lm5ESE_iEEiiiiiiiii, .Lfunc_end42-_ZN2at6native12_GLOBAL__N_144conv_depthwise3d_cuda_backward_weight_kernelIN3c108BFloat16EfLi2ELi2EEEvN5torch10headeronly6detail27GenericPackedTensorAccessorINS7_14TensorAccessorINS3_8ArrayRefIlEEKT_Lm4ENS6_16DefaultPtrTraitsEiEENS_6detail16IndexBoundsCheckILm5EiEESD_Lm5ESE_iEESJ_NS8_INS9_ISB_SC_Lm4ESE_iEESI_SC_Lm5ESE_iEEiiiiiiiii
                                        ; -- End function
	.set _ZN2at6native12_GLOBAL__N_144conv_depthwise3d_cuda_backward_weight_kernelIN3c108BFloat16EfLi2ELi2EEEvN5torch10headeronly6detail27GenericPackedTensorAccessorINS7_14TensorAccessorINS3_8ArrayRefIlEEKT_Lm4ENS6_16DefaultPtrTraitsEiEENS_6detail16IndexBoundsCheckILm5EiEESD_Lm5ESE_iEESJ_NS8_INS9_ISB_SC_Lm4ESE_iEESI_SC_Lm5ESE_iEEiiiiiiiii.num_vgpr, 20
	.set _ZN2at6native12_GLOBAL__N_144conv_depthwise3d_cuda_backward_weight_kernelIN3c108BFloat16EfLi2ELi2EEEvN5torch10headeronly6detail27GenericPackedTensorAccessorINS7_14TensorAccessorINS3_8ArrayRefIlEEKT_Lm4ENS6_16DefaultPtrTraitsEiEENS_6detail16IndexBoundsCheckILm5EiEESD_Lm5ESE_iEESJ_NS8_INS9_ISB_SC_Lm4ESE_iEESI_SC_Lm5ESE_iEEiiiiiiiii.num_agpr, 0
	.set _ZN2at6native12_GLOBAL__N_144conv_depthwise3d_cuda_backward_weight_kernelIN3c108BFloat16EfLi2ELi2EEEvN5torch10headeronly6detail27GenericPackedTensorAccessorINS7_14TensorAccessorINS3_8ArrayRefIlEEKT_Lm4ENS6_16DefaultPtrTraitsEiEENS_6detail16IndexBoundsCheckILm5EiEESD_Lm5ESE_iEESJ_NS8_INS9_ISB_SC_Lm4ESE_iEESI_SC_Lm5ESE_iEEiiiiiiiii.numbered_sgpr, 53
	.set _ZN2at6native12_GLOBAL__N_144conv_depthwise3d_cuda_backward_weight_kernelIN3c108BFloat16EfLi2ELi2EEEvN5torch10headeronly6detail27GenericPackedTensorAccessorINS7_14TensorAccessorINS3_8ArrayRefIlEEKT_Lm4ENS6_16DefaultPtrTraitsEiEENS_6detail16IndexBoundsCheckILm5EiEESD_Lm5ESE_iEESJ_NS8_INS9_ISB_SC_Lm4ESE_iEESI_SC_Lm5ESE_iEEiiiiiiiii.num_named_barrier, 0
	.set _ZN2at6native12_GLOBAL__N_144conv_depthwise3d_cuda_backward_weight_kernelIN3c108BFloat16EfLi2ELi2EEEvN5torch10headeronly6detail27GenericPackedTensorAccessorINS7_14TensorAccessorINS3_8ArrayRefIlEEKT_Lm4ENS6_16DefaultPtrTraitsEiEENS_6detail16IndexBoundsCheckILm5EiEESD_Lm5ESE_iEESJ_NS8_INS9_ISB_SC_Lm4ESE_iEESI_SC_Lm5ESE_iEEiiiiiiiii.private_seg_size, 0
	.set _ZN2at6native12_GLOBAL__N_144conv_depthwise3d_cuda_backward_weight_kernelIN3c108BFloat16EfLi2ELi2EEEvN5torch10headeronly6detail27GenericPackedTensorAccessorINS7_14TensorAccessorINS3_8ArrayRefIlEEKT_Lm4ENS6_16DefaultPtrTraitsEiEENS_6detail16IndexBoundsCheckILm5EiEESD_Lm5ESE_iEESJ_NS8_INS9_ISB_SC_Lm4ESE_iEESI_SC_Lm5ESE_iEEiiiiiiiii.uses_vcc, 1
	.set _ZN2at6native12_GLOBAL__N_144conv_depthwise3d_cuda_backward_weight_kernelIN3c108BFloat16EfLi2ELi2EEEvN5torch10headeronly6detail27GenericPackedTensorAccessorINS7_14TensorAccessorINS3_8ArrayRefIlEEKT_Lm4ENS6_16DefaultPtrTraitsEiEENS_6detail16IndexBoundsCheckILm5EiEESD_Lm5ESE_iEESJ_NS8_INS9_ISB_SC_Lm4ESE_iEESI_SC_Lm5ESE_iEEiiiiiiiii.uses_flat_scratch, 0
	.set _ZN2at6native12_GLOBAL__N_144conv_depthwise3d_cuda_backward_weight_kernelIN3c108BFloat16EfLi2ELi2EEEvN5torch10headeronly6detail27GenericPackedTensorAccessorINS7_14TensorAccessorINS3_8ArrayRefIlEEKT_Lm4ENS6_16DefaultPtrTraitsEiEENS_6detail16IndexBoundsCheckILm5EiEESD_Lm5ESE_iEESJ_NS8_INS9_ISB_SC_Lm4ESE_iEESI_SC_Lm5ESE_iEEiiiiiiiii.has_dyn_sized_stack, 0
	.set _ZN2at6native12_GLOBAL__N_144conv_depthwise3d_cuda_backward_weight_kernelIN3c108BFloat16EfLi2ELi2EEEvN5torch10headeronly6detail27GenericPackedTensorAccessorINS7_14TensorAccessorINS3_8ArrayRefIlEEKT_Lm4ENS6_16DefaultPtrTraitsEiEENS_6detail16IndexBoundsCheckILm5EiEESD_Lm5ESE_iEESJ_NS8_INS9_ISB_SC_Lm4ESE_iEESI_SC_Lm5ESE_iEEiiiiiiiii.has_recursion, 0
	.set _ZN2at6native12_GLOBAL__N_144conv_depthwise3d_cuda_backward_weight_kernelIN3c108BFloat16EfLi2ELi2EEEvN5torch10headeronly6detail27GenericPackedTensorAccessorINS7_14TensorAccessorINS3_8ArrayRefIlEEKT_Lm4ENS6_16DefaultPtrTraitsEiEENS_6detail16IndexBoundsCheckILm5EiEESD_Lm5ESE_iEESJ_NS8_INS9_ISB_SC_Lm4ESE_iEESI_SC_Lm5ESE_iEEiiiiiiiii.has_indirect_call, 0
	.section	.AMDGPU.csdata,"",@progbits
; Kernel info:
; codeLenInByte = 1908
; TotalNumSgprs: 59
; NumVgprs: 20
; NumAgprs: 0
; TotalNumVgprs: 20
; ScratchSize: 0
; MemoryBound: 0
; FloatMode: 240
; IeeeMode: 1
; LDSByteSize: 0 bytes/workgroup (compile time only)
; SGPRBlocks: 7
; VGPRBlocks: 2
; NumSGPRsForWavesPerEU: 59
; NumVGPRsForWavesPerEU: 20
; AccumOffset: 20
; Occupancy: 8
; WaveLimiterHint : 1
; COMPUTE_PGM_RSRC2:SCRATCH_EN: 0
; COMPUTE_PGM_RSRC2:USER_SGPR: 2
; COMPUTE_PGM_RSRC2:TRAP_HANDLER: 0
; COMPUTE_PGM_RSRC2:TGID_X_EN: 1
; COMPUTE_PGM_RSRC2:TGID_Y_EN: 0
; COMPUTE_PGM_RSRC2:TGID_Z_EN: 0
; COMPUTE_PGM_RSRC2:TIDIG_COMP_CNT: 0
; COMPUTE_PGM_RSRC3_GFX90A:ACCUM_OFFSET: 4
; COMPUTE_PGM_RSRC3_GFX90A:TG_SPLIT: 0
	.section	.text._ZN2at6native12_GLOBAL__N_144conv_depthwise3d_cuda_backward_weight_kernelIN3c108BFloat16EfLin1ELin1EEEvN5torch10headeronly6detail27GenericPackedTensorAccessorINS7_14TensorAccessorINS3_8ArrayRefIlEEKT_Lm4ENS6_16DefaultPtrTraitsEiEENS_6detail16IndexBoundsCheckILm5EiEESD_Lm5ESE_iEESJ_NS8_INS9_ISB_SC_Lm4ESE_iEESI_SC_Lm5ESE_iEEiiiiiiiii,"axG",@progbits,_ZN2at6native12_GLOBAL__N_144conv_depthwise3d_cuda_backward_weight_kernelIN3c108BFloat16EfLin1ELin1EEEvN5torch10headeronly6detail27GenericPackedTensorAccessorINS7_14TensorAccessorINS3_8ArrayRefIlEEKT_Lm4ENS6_16DefaultPtrTraitsEiEENS_6detail16IndexBoundsCheckILm5EiEESD_Lm5ESE_iEESJ_NS8_INS9_ISB_SC_Lm4ESE_iEESI_SC_Lm5ESE_iEEiiiiiiiii,comdat
	.globl	_ZN2at6native12_GLOBAL__N_144conv_depthwise3d_cuda_backward_weight_kernelIN3c108BFloat16EfLin1ELin1EEEvN5torch10headeronly6detail27GenericPackedTensorAccessorINS7_14TensorAccessorINS3_8ArrayRefIlEEKT_Lm4ENS6_16DefaultPtrTraitsEiEENS_6detail16IndexBoundsCheckILm5EiEESD_Lm5ESE_iEESJ_NS8_INS9_ISB_SC_Lm4ESE_iEESI_SC_Lm5ESE_iEEiiiiiiiii ; -- Begin function _ZN2at6native12_GLOBAL__N_144conv_depthwise3d_cuda_backward_weight_kernelIN3c108BFloat16EfLin1ELin1EEEvN5torch10headeronly6detail27GenericPackedTensorAccessorINS7_14TensorAccessorINS3_8ArrayRefIlEEKT_Lm4ENS6_16DefaultPtrTraitsEiEENS_6detail16IndexBoundsCheckILm5EiEESD_Lm5ESE_iEESJ_NS8_INS9_ISB_SC_Lm4ESE_iEESI_SC_Lm5ESE_iEEiiiiiiiii
	.p2align	8
	.type	_ZN2at6native12_GLOBAL__N_144conv_depthwise3d_cuda_backward_weight_kernelIN3c108BFloat16EfLin1ELin1EEEvN5torch10headeronly6detail27GenericPackedTensorAccessorINS7_14TensorAccessorINS3_8ArrayRefIlEEKT_Lm4ENS6_16DefaultPtrTraitsEiEENS_6detail16IndexBoundsCheckILm5EiEESD_Lm5ESE_iEESJ_NS8_INS9_ISB_SC_Lm4ESE_iEESI_SC_Lm5ESE_iEEiiiiiiiii,@function
_ZN2at6native12_GLOBAL__N_144conv_depthwise3d_cuda_backward_weight_kernelIN3c108BFloat16EfLin1ELin1EEEvN5torch10headeronly6detail27GenericPackedTensorAccessorINS7_14TensorAccessorINS3_8ArrayRefIlEEKT_Lm4ENS6_16DefaultPtrTraitsEiEENS_6detail16IndexBoundsCheckILm5EiEESD_Lm5ESE_iEESJ_NS8_INS9_ISB_SC_Lm4ESE_iEESI_SC_Lm5ESE_iEEiiiiiiiii: ; @_ZN2at6native12_GLOBAL__N_144conv_depthwise3d_cuda_backward_weight_kernelIN3c108BFloat16EfLin1ELin1EEEvN5torch10headeronly6detail27GenericPackedTensorAccessorINS7_14TensorAccessorINS3_8ArrayRefIlEEKT_Lm4ENS6_16DefaultPtrTraitsEiEENS_6detail16IndexBoundsCheckILm5EiEESD_Lm5ESE_iEESJ_NS8_INS9_ISB_SC_Lm4ESE_iEESI_SC_Lm5ESE_iEEiiiiiiiii
; %bb.0:
	s_load_dwordx4 s[4:7], s[0:1], 0x70
	s_add_u32 s24, s0, 0x60
	s_addc_u32 s25, s1, 0
	s_load_dwordx4 s[16:19], s[0:1], 0x3c
	s_load_dwordx4 s[20:23], s[0:1], 0xc
	s_waitcnt lgkmcnt(0)
	v_cvt_f32_u32_e32 v1, s6
	v_cvt_f32_u32_e32 v2, s5
	s_sub_i32 s3, 0, s6
	v_rcp_iflag_f32_e32 v1, v1
	v_rcp_iflag_f32_e32 v2, v2
	v_mul_f32_e32 v1, 0x4f7ffffe, v1
	v_cvt_u32_f32_e32 v1, v1
	v_mul_f32_e32 v2, 0x4f7ffffe, v2
	v_cvt_u32_f32_e32 v2, v2
	v_readfirstlane_b32 s8, v1
	s_mul_i32 s3, s3, s8
	s_mul_hi_u32 s3, s8, s3
	s_add_i32 s8, s8, s3
	s_mul_hi_u32 s3, s2, s8
	s_mul_i32 s8, s3, s6
	s_sub_i32 s8, s2, s8
	s_add_i32 s10, s3, 1
	s_sub_i32 s11, s8, s6
	s_cmp_ge_u32 s8, s6
	s_cselect_b32 s3, s10, s3
	s_cselect_b32 s8, s11, s8
	s_add_i32 s10, s3, 1
	s_cmp_ge_u32 s8, s6
	v_cvt_f32_u32_e32 v1, s4
	v_readfirstlane_b32 s9, v2
	s_cselect_b32 s3, s10, s3
	s_sub_i32 s8, 0, s5
	s_mul_i32 s8, s8, s9
	s_mul_hi_u32 s8, s9, s8
	s_add_i32 s9, s9, s8
	v_rcp_iflag_f32_e32 v1, v1
	s_mul_hi_u32 s8, s3, s9
	s_mul_i32 s9, s8, s5
	s_sub_i32 s9, s3, s9
	s_add_i32 s10, s8, 1
	s_sub_i32 s11, s9, s5
	v_mul_f32_e32 v1, 0x4f7ffffe, v1
	s_cmp_ge_u32 s9, s5
	v_cvt_u32_f32_e32 v1, v1
	s_cselect_b32 s8, s10, s8
	s_cselect_b32 s9, s11, s9
	s_add_i32 s10, s8, 1
	s_cmp_ge_u32 s9, s5
	s_cselect_b32 s26, s10, s8
	s_sub_i32 s8, 0, s4
	v_readfirstlane_b32 s9, v1
	s_mul_i32 s8, s8, s9
	s_mul_hi_u32 s8, s9, s8
	s_add_i32 s9, s9, s8
	s_mul_hi_u32 s8, s26, s9
	s_mul_i32 s9, s8, s4
	s_sub_i32 s9, s26, s9
	s_add_i32 s10, s8, 1
	s_sub_i32 s11, s9, s4
	s_cmp_ge_u32 s9, s4
	s_cselect_b32 s8, s10, s8
	s_cselect_b32 s9, s11, s9
	s_add_i32 s10, s8, 1
	s_cmp_ge_u32 s9, s4
	s_cselect_b32 s33, s10, s8
	s_abs_i32 s8, s16
	v_cvt_f32_u32_e32 v1, s8
	s_sub_i32 s11, 0, s8
	s_abs_i32 s10, s20
	s_xor_b32 s9, s20, s16
	v_rcp_iflag_f32_e32 v1, v1
	s_ashr_i32 s9, s9, 31
	v_mul_f32_e32 v1, 0x4f7ffffe, v1
	v_cvt_u32_f32_e32 v1, v1
	s_nop 0
	v_readfirstlane_b32 s12, v1
	s_mul_i32 s11, s11, s12
	s_mul_hi_u32 s11, s12, s11
	s_add_i32 s12, s12, s11
	s_mul_hi_u32 s11, s10, s12
	s_mul_i32 s12, s11, s8
	s_sub_i32 s10, s10, s12
	s_add_i32 s12, s11, 1
	s_sub_i32 s13, s10, s8
	s_cmp_ge_u32 s10, s8
	s_cselect_b32 s11, s12, s11
	s_cselect_b32 s10, s13, s10
	s_add_i32 s12, s11, 1
	s_cmp_ge_u32 s10, s8
	s_cselect_b32 s8, s12, s11
	s_xor_b32 s8, s8, s9
	s_sub_i32 s28, s8, s9
	s_abs_i32 s27, s28
	v_cvt_f32_u32_e32 v1, s27
	s_load_dword s8, s[0:1], 0x68
	v_rcp_iflag_f32_e32 v1, v1
	s_waitcnt lgkmcnt(0)
	s_cmp_ge_i32 s33, s8
	v_mul_f32_e32 v1, 0x4f7ffffe, v1
	v_cvt_u32_f32_e32 v1, v1
	s_nop 0
	v_readfirstlane_b32 s29, v1
	s_cbranch_scc1 .LBB43_32
; %bb.1:
	s_mul_i32 s6, s3, s6
	s_sub_i32 s6, s2, s6
	s_mul_i32 s2, s26, s5
	s_load_dwordx2 s[34:35], s[24:25], 0x0
	s_load_dwordx8 s[8:15], s[24:25], 0x24
	s_sub_i32 s16, s3, s2
	s_load_dwordx4 s[36:39], s[24:25], 0x44
	s_load_dword s2, s[0:1], 0xc4
	s_load_dword s53, s[0:1], 0x38
	s_mul_i32 s3, s33, s4
	v_lshrrev_b32_e32 v1, 6, v0
	s_sub_i32 s20, s26, s3
	s_waitcnt lgkmcnt(0)
	s_and_b32 s52, s2, 0xffff
	s_mul_i32 s53, s53, s21
	v_cmp_gt_i32_e32 vcc, s53, v1
	v_mov_b32_e32 v11, 0
	s_and_saveexec_b64 s[40:41], vcc
	s_cbranch_execz .LBB43_23
; %bb.2:
	s_sub_i32 s5, 0, s27
	s_mul_i32 s5, s5, s29
	s_mul_hi_u32 s5, s29, s5
	s_abs_i32 s4, s33
	s_add_i32 s29, s29, s5
	s_ashr_i32 s2, s33, 31
	s_ashr_i32 s3, s28, 31
	s_mul_hi_u32 s5, s4, s29
	s_xor_b32 s2, s2, s3
	s_mul_i32 s3, s5, s27
	s_sub_i32 s3, s4, s3
	s_lshr_b32 s54, s52, 6
	s_add_i32 s4, s5, 1
	s_sub_i32 s24, s3, s27
	s_cmp_ge_u32 s3, s27
	s_cselect_b32 s4, s4, s5
	s_cselect_b32 s3, s24, s3
	s_add_i32 s5, s4, 1
	s_cmp_ge_u32 s3, s27
	s_cselect_b32 s3, s5, s4
	s_abs_i32 s4, s21
	v_cvt_f32_u32_e32 v2, s4
	s_xor_b32 s3, s3, s2
	s_sub_i32 s46, s3, s2
	s_sub_i32 s2, 0, s4
	v_rcp_iflag_f32_e32 v3, v2
	s_ashr_i32 s5, s21, 31
	v_and_b32_e32 v2, 63, v0
	v_mul_f32_e32 v3, 0x4f7ffffe, v3
	v_cvt_u32_f32_e32 v3, v3
	v_mul_lo_u32 v4, s2, v3
	v_mul_hi_u32 v4, v3, v4
	v_add_u32_e32 v3, v3, v4
	v_mul_hi_u32 v3, v1, v3
	v_mul_lo_u32 v4, v3, s4
	v_sub_u32_e32 v4, v1, v4
	v_add_u32_e32 v5, 1, v3
	v_cmp_le_u32_e32 vcc, s4, v4
	s_load_dwordx2 s[2:3], s[0:1], 0x0
	s_load_dwordx4 s[24:27], s[0:1], 0x1c
	v_cndmask_b32_e32 v3, v3, v5, vcc
	v_subrev_u32_e32 v5, s4, v4
	v_cndmask_b32_e32 v4, v4, v5, vcc
	v_add_u32_e32 v5, 1, v3
	v_cmp_le_u32_e32 vcc, s4, v4
	s_load_dwordx2 s[44:45], s[0:1], 0x30
	s_load_dwordx4 s[28:31], s[0:1], 0x4c
	v_cndmask_b32_e32 v3, v3, v5, vcc
	s_mul_i32 s4, s20, s37
	v_xor_b32_e32 v3, s5, v3
	s_waitcnt lgkmcnt(0)
	s_sub_i32 s27, s4, s14
	s_mul_i32 s4, s25, s33
	v_subrev_u32_e32 v9, s5, v3
	s_ashr_i32 s5, s4, 31
	s_lshl_b64 s[0:1], s[4:5], 1
	s_add_u32 s42, s2, s0
	s_mul_i32 s0, s29, s46
	s_addc_u32 s43, s3, s1
	s_ashr_i32 s1, s0, 31
	s_lshl_b64 s[0:1], s[0:1], 1
	s_add_u32 s44, s44, s0
	s_addc_u32 s45, s45, s1
	s_abs_i32 s0, s23
	v_cvt_f32_u32_e32 v4, s0
	s_sub_i32 s2, 0, s0
	s_mul_i32 s1, s6, s39
	s_sub_i32 s25, s1, s36
	v_rcp_iflag_f32_e32 v4, v4
	s_mul_i32 s1, s16, s38
	s_sub_i32 s29, s1, s15
	s_ashr_i32 s1, s23, 31
	v_mul_f32_e32 v4, 0x4f7ffffe, v4
	v_cvt_u32_f32_e32 v4, v4
	v_mul_lo_u32 v3, v9, s21
	v_sub_u32_e32 v10, v1, v3
	v_mov_b32_e32 v3, 0
	v_mul_lo_u32 v5, s2, v4
	v_mul_hi_u32 v5, v4, v5
	v_add_u32_e32 v4, v4, v5
	v_mul_hi_u32 v4, v2, v4
	v_mul_lo_u32 v5, v4, s0
	v_sub_u32_e32 v5, v2, v5
	v_add_u32_e32 v6, 1, v4
	v_cmp_le_u32_e32 vcc, s0, v5
	s_mov_b64 s[14:15], 0
	s_mov_b64 s[36:37], 0x80
	v_cndmask_b32_e32 v4, v4, v6, vcc
	v_subrev_u32_e32 v6, s0, v5
	v_cndmask_b32_e32 v5, v5, v6, vcc
	v_add_u32_e32 v6, 1, v4
	v_cmp_le_u32_e32 vcc, s0, v5
	v_mov_b32_e32 v11, v3
	s_nop 0
	v_cndmask_b32_e32 v4, v4, v6, vcc
	v_xor_b32_e32 v4, s1, v4
	v_subrev_u32_e32 v12, s1, v4
	v_mul_lo_u32 v4, v12, s23
	v_cmp_gt_i32_e32 vcc, s22, v12
	v_sub_u32_e32 v13, v2, v4
	v_lshlrev_b32_e32 v2, 1, v2
	s_branch .LBB43_6
.LBB43_3:                               ;   in Loop: Header=BB43_6 Depth=1
	s_or_b64 exec, exec, s[48:49]
.LBB43_4:                               ;   in Loop: Header=BB43_6 Depth=1
	s_or_b64 exec, exec, s[46:47]
.LBB43_5:                               ;   in Loop: Header=BB43_6 Depth=1
	s_or_b64 exec, exec, s[38:39]
	v_add_u32_e32 v1, s54, v1
	v_cmp_le_i32_e64 s[0:1], s53, v1
	s_or_b64 s[14:15], s[0:1], s[14:15]
	v_add_u32_e32 v10, s54, v10
	s_andn2_b64 exec, exec, s[14:15]
	s_cbranch_execz .LBB43_22
.LBB43_6:                               ; =>This Loop Header: Depth=1
                                        ;     Child Loop BB43_8 Depth 2
                                        ;     Child Loop BB43_14 Depth 2
                                        ;       Child Loop BB43_20 Depth 3
	v_cmp_le_i32_e64 s[0:1], s21, v10
	s_and_saveexec_b64 s[2:3], s[0:1]
	s_cbranch_execz .LBB43_10
; %bb.7:                                ;   in Loop: Header=BB43_6 Depth=1
	s_mov_b64 s[4:5], 0
.LBB43_8:                               ;   Parent Loop BB43_6 Depth=1
                                        ; =>  This Inner Loop Header: Depth=2
	v_subrev_u32_e32 v10, s21, v10
	v_cmp_gt_i32_e64 s[0:1], s21, v10
	s_or_b64 s[4:5], s[0:1], s[4:5]
	v_add_u32_e32 v9, 1, v9
	s_andn2_b64 exec, exec, s[4:5]
	s_cbranch_execnz .LBB43_8
; %bb.9:                                ;   in Loop: Header=BB43_6 Depth=1
	s_or_b64 exec, exec, s[4:5]
.LBB43_10:                              ;   in Loop: Header=BB43_6 Depth=1
	s_or_b64 exec, exec, s[2:3]
	v_mul_lo_u32 v4, v10, s11
	v_add_u32_e32 v4, s27, v4
	v_cmp_lt_i32_e64 s[0:1], -1, v4
	v_cmp_gt_i32_e64 s[2:3], s17, v4
	s_and_b64 s[0:1], s[0:1], s[2:3]
	s_and_saveexec_b64 s[38:39], s[0:1]
	s_cbranch_execz .LBB43_5
; %bb.11:                               ;   in Loop: Header=BB43_6 Depth=1
	s_and_saveexec_b64 s[46:47], vcc
	s_cbranch_execz .LBB43_4
; %bb.12:                               ;   in Loop: Header=BB43_6 Depth=1
	v_mul_lo_u32 v6, s28, v9
	v_ashrrev_i32_e32 v7, 31, v6
	v_mul_lo_u32 v4, s30, v4
	v_lshl_add_u64 v[6:7], v[6:7], 1, s[44:45]
	v_ashrrev_i32_e32 v5, 31, v4
	v_lshl_add_u64 v[4:5], v[4:5], 1, v[6:7]
	v_mul_lo_u32 v6, s24, v9
	v_ashrrev_i32_e32 v7, 31, v6
	v_mul_lo_u32 v14, s26, v10
	v_lshl_add_u64 v[6:7], v[6:7], 1, s[42:43]
	v_ashrrev_i32_e32 v15, 31, v14
	v_lshl_add_u64 v[6:7], v[14:15], 1, v[6:7]
	v_lshl_add_u64 v[6:7], v[6:7], 0, v[2:3]
	s_mov_b64 s[48:49], 0
	v_mov_b32_e32 v14, v13
	v_mov_b32_e32 v15, v12
	s_branch .LBB43_14
.LBB43_13:                              ;   in Loop: Header=BB43_14 Depth=2
	s_or_b64 exec, exec, s[2:3]
	s_waitcnt vmcnt(0)
	v_lshlrev_b32_e32 v8, 16, v16
	v_cmp_le_i32_e64 s[0:1], s22, v15
	v_lshl_add_u64 v[6:7], v[6:7], 0, s[36:37]
	s_or_b64 s[48:49], s[0:1], s[48:49]
	v_fmac_f32_e32 v11, v17, v8
	s_andn2_b64 exec, exec, s[48:49]
	s_cbranch_execz .LBB43_3
.LBB43_14:                              ;   Parent Loop BB43_6 Depth=1
                                        ; =>  This Loop Header: Depth=2
                                        ;       Child Loop BB43_20 Depth 3
	global_load_ushort v16, v[6:7], off
	v_mul_lo_u32 v8, v14, s13
	v_add_u32_e32 v8, s25, v8
	v_cmp_lt_i32_e64 s[0:1], -1, v8
	v_mov_b32_e32 v17, 0
	s_and_saveexec_b64 s[50:51], s[0:1]
	s_cbranch_execz .LBB43_18
; %bb.15:                               ;   in Loop: Header=BB43_14 Depth=2
	v_mul_lo_u32 v17, v15, s12
	v_add_u32_e32 v18, s29, v17
	v_cmp_gt_i32_e64 s[0:1], s19, v8
	v_cmp_gt_i32_e64 s[4:5], s18, v18
	v_cmp_lt_i32_e64 s[2:3], -1, v18
	s_and_b64 s[0:1], s[0:1], s[4:5]
	s_and_b64 s[2:3], s[0:1], s[2:3]
	v_mov_b32_e32 v17, 0
	s_and_saveexec_b64 s[0:1], s[2:3]
	s_cbranch_execz .LBB43_17
; %bb.16:                               ;   in Loop: Header=BB43_14 Depth=2
	v_mad_u64_u32 v[18:19], s[2:3], v18, s19, v[8:9]
	v_mov_b32_e32 v19, v3
	v_lshl_add_u64 v[18:19], v[18:19], 1, v[4:5]
	global_load_ushort v8, v[18:19], off
	s_waitcnt vmcnt(0)
	v_lshlrev_b32_e32 v17, 16, v8
.LBB43_17:                              ;   in Loop: Header=BB43_14 Depth=2
	s_or_b64 exec, exec, s[0:1]
.LBB43_18:                              ;   in Loop: Header=BB43_14 Depth=2
	s_or_b64 exec, exec, s[50:51]
	v_add_u32_e32 v14, 64, v14
	v_cmp_le_i32_e64 s[0:1], s23, v14
	s_and_saveexec_b64 s[2:3], s[0:1]
	s_cbranch_execz .LBB43_13
; %bb.19:                               ;   in Loop: Header=BB43_14 Depth=2
	s_mov_b64 s[4:5], 0
.LBB43_20:                              ;   Parent Loop BB43_6 Depth=1
                                        ;     Parent Loop BB43_14 Depth=2
                                        ; =>    This Inner Loop Header: Depth=3
	v_subrev_u32_e32 v14, s23, v14
	v_cmp_gt_i32_e64 s[0:1], s23, v14
	s_or_b64 s[4:5], s[0:1], s[4:5]
	v_add_u32_e32 v15, 1, v15
	s_andn2_b64 exec, exec, s[4:5]
	s_cbranch_execnz .LBB43_20
; %bb.21:                               ;   in Loop: Header=BB43_14 Depth=2
	s_or_b64 exec, exec, s[4:5]
	s_branch .LBB43_13
.LBB43_22:
	s_or_b64 exec, exec, s[14:15]
.LBB43_23:
	s_or_b64 exec, exec, s[40:41]
	v_bfe_u32 v1, v11, 16, 1
	s_movk_i32 s0, 0x7fff
	v_add3_u32 v1, v11, v1, s0
	v_cmp_o_f32_e32 vcc, v11, v11
	v_mov_b32_e32 v2, 0x7fc0
	s_bcnt1_i32_b32 s0, s52
	v_cndmask_b32_sdwa v2, v2, v1, vcc dst_sel:DWORD dst_unused:UNUSED_PAD src0_sel:DWORD src1_sel:WORD_1
	v_lshl_add_u32 v1, v0, 1, 0
	s_cmp_lg_u32 s0, 1
	s_mov_b64 s[0:1], -1
	ds_write_b16 v1, v2
	s_waitcnt lgkmcnt(0)
	s_barrier
	s_cbranch_scc1 .LBB43_33
; %bb.24:
	s_andn2_b64 vcc, exec, s[0:1]
	s_cbranch_vccnz .LBB43_32
.LBB43_25:
	s_cmp_lt_u32 s52, 2
	s_cbranch_scc1 .LBB43_30
; %bb.26:
	s_movk_i32 s2, 0x7fff
	v_mov_b32_e32 v2, 0x7fc0
	s_branch .LBB43_28
.LBB43_27:                              ;   in Loop: Header=BB43_28 Depth=1
	s_or_b64 exec, exec, s[0:1]
	s_cmp_lt_u32 s52, 4
	s_mov_b32 s52, s3
	s_waitcnt lgkmcnt(0)
	s_barrier
	s_cbranch_scc1 .LBB43_30
.LBB43_28:                              ; =>This Inner Loop Header: Depth=1
	s_lshr_b32 s3, s52, 1
	v_cmp_gt_u32_e32 vcc, s3, v0
	s_and_saveexec_b64 s[0:1], vcc
	s_cbranch_execz .LBB43_27
; %bb.29:                               ;   in Loop: Header=BB43_28 Depth=1
	v_lshl_add_u32 v3, s3, 1, v1
	ds_read_u16 v3, v3
	ds_read_u16 v4, v1
	s_waitcnt lgkmcnt(1)
	v_lshlrev_b32_e32 v3, 16, v3
	s_waitcnt lgkmcnt(0)
	v_lshlrev_b32_e32 v4, 16, v4
	v_add_f32_e32 v3, v4, v3
	v_bfe_u32 v4, v3, 16, 1
	v_cmp_o_f32_e32 vcc, v3, v3
	v_add3_u32 v3, v3, v4, s2
	s_nop 0
	v_cndmask_b32_sdwa v3, v2, v3, vcc dst_sel:DWORD dst_unused:UNUSED_PAD src0_sel:DWORD src1_sel:WORD_1
	ds_write_b16 v1, v3
	s_branch .LBB43_27
.LBB43_30:
	v_cmp_eq_u32_e32 vcc, 0, v0
	s_and_saveexec_b64 s[0:1], vcc
	s_cbranch_execz .LBB43_32
; %bb.31:
	s_mul_i32 s0, s7, s33
	s_ashr_i32 s1, s0, 31
	s_lshl_b64 s[0:1], s[0:1], 1
	s_add_u32 s2, s34, s0
	s_mul_i32 s0, s8, s20
	s_addc_u32 s3, s35, s1
	s_ashr_i32 s1, s0, 31
	s_lshl_b64 s[0:1], s[0:1], 1
	s_add_u32 s2, s2, s0
	s_mul_i32 s0, s9, s16
	s_addc_u32 s3, s3, s1
	s_ashr_i32 s1, s0, 31
	s_lshl_b64 s[0:1], s[0:1], 1
	v_mov_b32_e32 v0, 0
	s_add_u32 s2, s2, s0
	s_mul_i32 s0, s10, s6
	ds_read_u16 v1, v0
	s_addc_u32 s3, s3, s1
	s_ashr_i32 s1, s0, 31
	s_lshl_b64 s[0:1], s[0:1], 1
	s_add_u32 s0, s2, s0
	s_addc_u32 s1, s3, s1
	s_waitcnt lgkmcnt(0)
	global_store_short v0, v1, s[0:1]
.LBB43_32:
	s_endpgm
.LBB43_33:
	s_trap 2
	; divergent unreachable
	s_cbranch_execz .LBB43_25
	s_branch .LBB43_32
	.section	.rodata,"a",@progbits
	.p2align	6, 0x0
	.amdhsa_kernel _ZN2at6native12_GLOBAL__N_144conv_depthwise3d_cuda_backward_weight_kernelIN3c108BFloat16EfLin1ELin1EEEvN5torch10headeronly6detail27GenericPackedTensorAccessorINS7_14TensorAccessorINS3_8ArrayRefIlEEKT_Lm4ENS6_16DefaultPtrTraitsEiEENS_6detail16IndexBoundsCheckILm5EiEESD_Lm5ESE_iEESJ_NS8_INS9_ISB_SC_Lm4ESE_iEESI_SC_Lm5ESE_iEEiiiiiiiii
		.amdhsa_group_segment_fixed_size 0
		.amdhsa_private_segment_fixed_size 0
		.amdhsa_kernarg_size 440
		.amdhsa_user_sgpr_count 2
		.amdhsa_user_sgpr_dispatch_ptr 0
		.amdhsa_user_sgpr_queue_ptr 0
		.amdhsa_user_sgpr_kernarg_segment_ptr 1
		.amdhsa_user_sgpr_dispatch_id 0
		.amdhsa_user_sgpr_kernarg_preload_length 0
		.amdhsa_user_sgpr_kernarg_preload_offset 0
		.amdhsa_user_sgpr_private_segment_size 0
		.amdhsa_uses_dynamic_stack 0
		.amdhsa_enable_private_segment 0
		.amdhsa_system_sgpr_workgroup_id_x 1
		.amdhsa_system_sgpr_workgroup_id_y 0
		.amdhsa_system_sgpr_workgroup_id_z 0
		.amdhsa_system_sgpr_workgroup_info 0
		.amdhsa_system_vgpr_workitem_id 0
		.amdhsa_next_free_vgpr 20
		.amdhsa_next_free_sgpr 55
		.amdhsa_accum_offset 20
		.amdhsa_reserve_vcc 1
		.amdhsa_float_round_mode_32 0
		.amdhsa_float_round_mode_16_64 0
		.amdhsa_float_denorm_mode_32 3
		.amdhsa_float_denorm_mode_16_64 3
		.amdhsa_dx10_clamp 1
		.amdhsa_ieee_mode 1
		.amdhsa_fp16_overflow 0
		.amdhsa_tg_split 0
		.amdhsa_exception_fp_ieee_invalid_op 0
		.amdhsa_exception_fp_denorm_src 0
		.amdhsa_exception_fp_ieee_div_zero 0
		.amdhsa_exception_fp_ieee_overflow 0
		.amdhsa_exception_fp_ieee_underflow 0
		.amdhsa_exception_fp_ieee_inexact 0
		.amdhsa_exception_int_div_zero 0
	.end_amdhsa_kernel
	.section	.text._ZN2at6native12_GLOBAL__N_144conv_depthwise3d_cuda_backward_weight_kernelIN3c108BFloat16EfLin1ELin1EEEvN5torch10headeronly6detail27GenericPackedTensorAccessorINS7_14TensorAccessorINS3_8ArrayRefIlEEKT_Lm4ENS6_16DefaultPtrTraitsEiEENS_6detail16IndexBoundsCheckILm5EiEESD_Lm5ESE_iEESJ_NS8_INS9_ISB_SC_Lm4ESE_iEESI_SC_Lm5ESE_iEEiiiiiiiii,"axG",@progbits,_ZN2at6native12_GLOBAL__N_144conv_depthwise3d_cuda_backward_weight_kernelIN3c108BFloat16EfLin1ELin1EEEvN5torch10headeronly6detail27GenericPackedTensorAccessorINS7_14TensorAccessorINS3_8ArrayRefIlEEKT_Lm4ENS6_16DefaultPtrTraitsEiEENS_6detail16IndexBoundsCheckILm5EiEESD_Lm5ESE_iEESJ_NS8_INS9_ISB_SC_Lm4ESE_iEESI_SC_Lm5ESE_iEEiiiiiiiii,comdat
.Lfunc_end43:
	.size	_ZN2at6native12_GLOBAL__N_144conv_depthwise3d_cuda_backward_weight_kernelIN3c108BFloat16EfLin1ELin1EEEvN5torch10headeronly6detail27GenericPackedTensorAccessorINS7_14TensorAccessorINS3_8ArrayRefIlEEKT_Lm4ENS6_16DefaultPtrTraitsEiEENS_6detail16IndexBoundsCheckILm5EiEESD_Lm5ESE_iEESJ_NS8_INS9_ISB_SC_Lm4ESE_iEESI_SC_Lm5ESE_iEEiiiiiiiii, .Lfunc_end43-_ZN2at6native12_GLOBAL__N_144conv_depthwise3d_cuda_backward_weight_kernelIN3c108BFloat16EfLin1ELin1EEEvN5torch10headeronly6detail27GenericPackedTensorAccessorINS7_14TensorAccessorINS3_8ArrayRefIlEEKT_Lm4ENS6_16DefaultPtrTraitsEiEENS_6detail16IndexBoundsCheckILm5EiEESD_Lm5ESE_iEESJ_NS8_INS9_ISB_SC_Lm4ESE_iEESI_SC_Lm5ESE_iEEiiiiiiiii
                                        ; -- End function
	.set _ZN2at6native12_GLOBAL__N_144conv_depthwise3d_cuda_backward_weight_kernelIN3c108BFloat16EfLin1ELin1EEEvN5torch10headeronly6detail27GenericPackedTensorAccessorINS7_14TensorAccessorINS3_8ArrayRefIlEEKT_Lm4ENS6_16DefaultPtrTraitsEiEENS_6detail16IndexBoundsCheckILm5EiEESD_Lm5ESE_iEESJ_NS8_INS9_ISB_SC_Lm4ESE_iEESI_SC_Lm5ESE_iEEiiiiiiiii.num_vgpr, 20
	.set _ZN2at6native12_GLOBAL__N_144conv_depthwise3d_cuda_backward_weight_kernelIN3c108BFloat16EfLin1ELin1EEEvN5torch10headeronly6detail27GenericPackedTensorAccessorINS7_14TensorAccessorINS3_8ArrayRefIlEEKT_Lm4ENS6_16DefaultPtrTraitsEiEENS_6detail16IndexBoundsCheckILm5EiEESD_Lm5ESE_iEESJ_NS8_INS9_ISB_SC_Lm4ESE_iEESI_SC_Lm5ESE_iEEiiiiiiiii.num_agpr, 0
	.set _ZN2at6native12_GLOBAL__N_144conv_depthwise3d_cuda_backward_weight_kernelIN3c108BFloat16EfLin1ELin1EEEvN5torch10headeronly6detail27GenericPackedTensorAccessorINS7_14TensorAccessorINS3_8ArrayRefIlEEKT_Lm4ENS6_16DefaultPtrTraitsEiEENS_6detail16IndexBoundsCheckILm5EiEESD_Lm5ESE_iEESJ_NS8_INS9_ISB_SC_Lm4ESE_iEESI_SC_Lm5ESE_iEEiiiiiiiii.numbered_sgpr, 55
	.set _ZN2at6native12_GLOBAL__N_144conv_depthwise3d_cuda_backward_weight_kernelIN3c108BFloat16EfLin1ELin1EEEvN5torch10headeronly6detail27GenericPackedTensorAccessorINS7_14TensorAccessorINS3_8ArrayRefIlEEKT_Lm4ENS6_16DefaultPtrTraitsEiEENS_6detail16IndexBoundsCheckILm5EiEESD_Lm5ESE_iEESJ_NS8_INS9_ISB_SC_Lm4ESE_iEESI_SC_Lm5ESE_iEEiiiiiiiii.num_named_barrier, 0
	.set _ZN2at6native12_GLOBAL__N_144conv_depthwise3d_cuda_backward_weight_kernelIN3c108BFloat16EfLin1ELin1EEEvN5torch10headeronly6detail27GenericPackedTensorAccessorINS7_14TensorAccessorINS3_8ArrayRefIlEEKT_Lm4ENS6_16DefaultPtrTraitsEiEENS_6detail16IndexBoundsCheckILm5EiEESD_Lm5ESE_iEESJ_NS8_INS9_ISB_SC_Lm4ESE_iEESI_SC_Lm5ESE_iEEiiiiiiiii.private_seg_size, 0
	.set _ZN2at6native12_GLOBAL__N_144conv_depthwise3d_cuda_backward_weight_kernelIN3c108BFloat16EfLin1ELin1EEEvN5torch10headeronly6detail27GenericPackedTensorAccessorINS7_14TensorAccessorINS3_8ArrayRefIlEEKT_Lm4ENS6_16DefaultPtrTraitsEiEENS_6detail16IndexBoundsCheckILm5EiEESD_Lm5ESE_iEESJ_NS8_INS9_ISB_SC_Lm4ESE_iEESI_SC_Lm5ESE_iEEiiiiiiiii.uses_vcc, 1
	.set _ZN2at6native12_GLOBAL__N_144conv_depthwise3d_cuda_backward_weight_kernelIN3c108BFloat16EfLin1ELin1EEEvN5torch10headeronly6detail27GenericPackedTensorAccessorINS7_14TensorAccessorINS3_8ArrayRefIlEEKT_Lm4ENS6_16DefaultPtrTraitsEiEENS_6detail16IndexBoundsCheckILm5EiEESD_Lm5ESE_iEESJ_NS8_INS9_ISB_SC_Lm4ESE_iEESI_SC_Lm5ESE_iEEiiiiiiiii.uses_flat_scratch, 0
	.set _ZN2at6native12_GLOBAL__N_144conv_depthwise3d_cuda_backward_weight_kernelIN3c108BFloat16EfLin1ELin1EEEvN5torch10headeronly6detail27GenericPackedTensorAccessorINS7_14TensorAccessorINS3_8ArrayRefIlEEKT_Lm4ENS6_16DefaultPtrTraitsEiEENS_6detail16IndexBoundsCheckILm5EiEESD_Lm5ESE_iEESJ_NS8_INS9_ISB_SC_Lm4ESE_iEESI_SC_Lm5ESE_iEEiiiiiiiii.has_dyn_sized_stack, 0
	.set _ZN2at6native12_GLOBAL__N_144conv_depthwise3d_cuda_backward_weight_kernelIN3c108BFloat16EfLin1ELin1EEEvN5torch10headeronly6detail27GenericPackedTensorAccessorINS7_14TensorAccessorINS3_8ArrayRefIlEEKT_Lm4ENS6_16DefaultPtrTraitsEiEENS_6detail16IndexBoundsCheckILm5EiEESD_Lm5ESE_iEESJ_NS8_INS9_ISB_SC_Lm4ESE_iEESI_SC_Lm5ESE_iEEiiiiiiiii.has_recursion, 0
	.set _ZN2at6native12_GLOBAL__N_144conv_depthwise3d_cuda_backward_weight_kernelIN3c108BFloat16EfLin1ELin1EEEvN5torch10headeronly6detail27GenericPackedTensorAccessorINS7_14TensorAccessorINS3_8ArrayRefIlEEKT_Lm4ENS6_16DefaultPtrTraitsEiEENS_6detail16IndexBoundsCheckILm5EiEESD_Lm5ESE_iEESJ_NS8_INS9_ISB_SC_Lm4ESE_iEESI_SC_Lm5ESE_iEEiiiiiiiii.has_indirect_call, 0
	.section	.AMDGPU.csdata,"",@progbits
; Kernel info:
; codeLenInByte = 1904
; TotalNumSgprs: 61
; NumVgprs: 20
; NumAgprs: 0
; TotalNumVgprs: 20
; ScratchSize: 0
; MemoryBound: 0
; FloatMode: 240
; IeeeMode: 1
; LDSByteSize: 0 bytes/workgroup (compile time only)
; SGPRBlocks: 7
; VGPRBlocks: 2
; NumSGPRsForWavesPerEU: 61
; NumVGPRsForWavesPerEU: 20
; AccumOffset: 20
; Occupancy: 8
; WaveLimiterHint : 1
; COMPUTE_PGM_RSRC2:SCRATCH_EN: 0
; COMPUTE_PGM_RSRC2:USER_SGPR: 2
; COMPUTE_PGM_RSRC2:TRAP_HANDLER: 0
; COMPUTE_PGM_RSRC2:TGID_X_EN: 1
; COMPUTE_PGM_RSRC2:TGID_Y_EN: 0
; COMPUTE_PGM_RSRC2:TGID_Z_EN: 0
; COMPUTE_PGM_RSRC2:TIDIG_COMP_CNT: 0
; COMPUTE_PGM_RSRC3_GFX90A:ACCUM_OFFSET: 4
; COMPUTE_PGM_RSRC3_GFX90A:TG_SPLIT: 0
	.section	.AMDGPU.gpr_maximums,"",@progbits
	.set amdgpu.max_num_vgpr, 0
	.set amdgpu.max_num_agpr, 0
	.set amdgpu.max_num_sgpr, 0
	.section	.AMDGPU.csdata,"",@progbits
	.type	__hip_cuid_eb09440b77aaa30e,@object ; @__hip_cuid_eb09440b77aaa30e
	.section	.bss,"aw",@nobits
	.globl	__hip_cuid_eb09440b77aaa30e
__hip_cuid_eb09440b77aaa30e:
	.byte	0                               ; 0x0
	.size	__hip_cuid_eb09440b77aaa30e, 1

	.ident	"AMD clang version 22.0.0git (https://github.com/RadeonOpenCompute/llvm-project roc-7.2.4 26084 f58b06dce1f9c15707c5f808fd002e18c2accf7e)"
	.section	".note.GNU-stack","",@progbits
	.addrsig
	.addrsig_sym __hip_cuid_eb09440b77aaa30e
	.amdgpu_metadata
---
amdhsa.kernels:
  - .agpr_count:     0
    .args:
      - .offset:         0
        .size:           48
        .value_kind:     by_value
      - .offset:         48
        .size:           48
        .value_kind:     by_value
      - .offset:         96
        .size:           48
        .value_kind:     by_value
      - .address_space:  global
        .offset:         144
        .size:           8
        .value_kind:     global_buffer
      - .offset:         152
        .size:           4
        .value_kind:     by_value
      - .offset:         156
        .size:           4
        .value_kind:     by_value
      - .offset:         160
        .size:           4
        .value_kind:     by_value
      - .offset:         164
        .size:           4
        .value_kind:     by_value
      - .offset:         168
        .size:           4
        .value_kind:     by_value
      - .offset:         172
        .size:           4
        .value_kind:     by_value
      - .offset:         176
        .size:           4
        .value_kind:     by_value
      - .offset:         180
        .size:           4
        .value_kind:     by_value
      - .offset:         184
        .size:           4
        .value_kind:     by_value
      - .offset:         192
        .size:           4
        .value_kind:     hidden_block_count_x
      - .offset:         196
        .size:           4
        .value_kind:     hidden_block_count_y
      - .offset:         200
        .size:           4
        .value_kind:     hidden_block_count_z
      - .offset:         204
        .size:           2
        .value_kind:     hidden_group_size_x
      - .offset:         206
        .size:           2
        .value_kind:     hidden_group_size_y
      - .offset:         208
        .size:           2
        .value_kind:     hidden_group_size_z
      - .offset:         210
        .size:           2
        .value_kind:     hidden_remainder_x
      - .offset:         212
        .size:           2
        .value_kind:     hidden_remainder_y
      - .offset:         214
        .size:           2
        .value_kind:     hidden_remainder_z
      - .offset:         232
        .size:           8
        .value_kind:     hidden_global_offset_x
      - .offset:         240
        .size:           8
        .value_kind:     hidden_global_offset_y
      - .offset:         248
        .size:           8
        .value_kind:     hidden_global_offset_z
      - .offset:         256
        .size:           2
        .value_kind:     hidden_grid_dims
    .group_segment_fixed_size: 0
    .kernarg_segment_align: 8
    .kernarg_segment_size: 448
    .language:       OpenCL C
    .language_version:
      - 2
      - 0
    .max_flat_workgroup_size: 1024
    .name:           _ZN2at6native12_GLOBAL__N_128conv_depthwise3d_cuda_kernelIddLi3ELi3ELi3ELi1ELi1ELi1EEEvN5torch10headeronly6detail27GenericPackedTensorAccessorINS5_14TensorAccessorIN3c108ArrayRefIlEEKT_Lm4ENS4_16DefaultPtrTraitsEiEENS_6detail16IndexBoundsCheckILm5EiEESC_Lm5ESD_iEENS6_INS7_ISA_SB_Lm4ESD_iEESH_SB_Lm5ESD_iEESI_PSC_iiiiiiiii
    .private_segment_fixed_size: 0
    .sgpr_count:     96
    .sgpr_spill_count: 0
    .symbol:         _ZN2at6native12_GLOBAL__N_128conv_depthwise3d_cuda_kernelIddLi3ELi3ELi3ELi1ELi1ELi1EEEvN5torch10headeronly6detail27GenericPackedTensorAccessorINS5_14TensorAccessorIN3c108ArrayRefIlEEKT_Lm4ENS4_16DefaultPtrTraitsEiEENS_6detail16IndexBoundsCheckILm5EiEESC_Lm5ESD_iEENS6_INS7_ISA_SB_Lm4ESD_iEESH_SB_Lm5ESD_iEESI_PSC_iiiiiiiii.kd
    .uniform_work_group_size: 1
    .uses_dynamic_stack: false
    .vgpr_count:     26
    .vgpr_spill_count: 0
    .wavefront_size: 64
  - .agpr_count:     0
    .args:
      - .offset:         0
        .size:           48
        .value_kind:     by_value
      - .offset:         48
        .size:           48
        .value_kind:     by_value
      - .offset:         96
        .size:           48
        .value_kind:     by_value
      - .address_space:  global
        .offset:         144
        .size:           8
        .value_kind:     global_buffer
      - .offset:         152
        .size:           4
        .value_kind:     by_value
      - .offset:         156
        .size:           4
        .value_kind:     by_value
      - .offset:         160
        .size:           4
        .value_kind:     by_value
      - .offset:         164
        .size:           4
        .value_kind:     by_value
      - .offset:         168
        .size:           4
        .value_kind:     by_value
      - .offset:         172
        .size:           4
        .value_kind:     by_value
      - .offset:         176
        .size:           4
        .value_kind:     by_value
      - .offset:         180
        .size:           4
        .value_kind:     by_value
      - .offset:         184
        .size:           4
        .value_kind:     by_value
      - .offset:         192
        .size:           4
        .value_kind:     hidden_block_count_x
      - .offset:         196
        .size:           4
        .value_kind:     hidden_block_count_y
      - .offset:         200
        .size:           4
        .value_kind:     hidden_block_count_z
      - .offset:         204
        .size:           2
        .value_kind:     hidden_group_size_x
      - .offset:         206
        .size:           2
        .value_kind:     hidden_group_size_y
      - .offset:         208
        .size:           2
        .value_kind:     hidden_group_size_z
      - .offset:         210
        .size:           2
        .value_kind:     hidden_remainder_x
      - .offset:         212
        .size:           2
        .value_kind:     hidden_remainder_y
      - .offset:         214
        .size:           2
        .value_kind:     hidden_remainder_z
      - .offset:         232
        .size:           8
        .value_kind:     hidden_global_offset_x
      - .offset:         240
        .size:           8
        .value_kind:     hidden_global_offset_y
      - .offset:         248
        .size:           8
        .value_kind:     hidden_global_offset_z
      - .offset:         256
        .size:           2
        .value_kind:     hidden_grid_dims
    .group_segment_fixed_size: 0
    .kernarg_segment_align: 8
    .kernarg_segment_size: 448
    .language:       OpenCL C
    .language_version:
      - 2
      - 0
    .max_flat_workgroup_size: 1024
    .name:           _ZN2at6native12_GLOBAL__N_128conv_depthwise3d_cuda_kernelIddLin1ELin1ELin1ELi1ELi1ELi1EEEvN5torch10headeronly6detail27GenericPackedTensorAccessorINS5_14TensorAccessorIN3c108ArrayRefIlEEKT_Lm4ENS4_16DefaultPtrTraitsEiEENS_6detail16IndexBoundsCheckILm5EiEESC_Lm5ESD_iEENS6_INS7_ISA_SB_Lm4ESD_iEESH_SB_Lm5ESD_iEESI_PSC_iiiiiiiii
    .private_segment_fixed_size: 0
    .sgpr_count:     84
    .sgpr_spill_count: 0
    .symbol:         _ZN2at6native12_GLOBAL__N_128conv_depthwise3d_cuda_kernelIddLin1ELin1ELin1ELi1ELi1ELi1EEEvN5torch10headeronly6detail27GenericPackedTensorAccessorINS5_14TensorAccessorIN3c108ArrayRefIlEEKT_Lm4ENS4_16DefaultPtrTraitsEiEENS_6detail16IndexBoundsCheckILm5EiEESC_Lm5ESD_iEENS6_INS7_ISA_SB_Lm4ESD_iEESH_SB_Lm5ESD_iEESI_PSC_iiiiiiiii.kd
    .uniform_work_group_size: 1
    .uses_dynamic_stack: false
    .vgpr_count:     28
    .vgpr_spill_count: 0
    .wavefront_size: 64
  - .agpr_count:     0
    .args:
      - .offset:         0
        .size:           48
        .value_kind:     by_value
      - .offset:         48
        .size:           48
        .value_kind:     by_value
      - .offset:         96
        .size:           48
        .value_kind:     by_value
      - .address_space:  global
        .offset:         144
        .size:           8
        .value_kind:     global_buffer
      - .offset:         152
        .size:           4
        .value_kind:     by_value
      - .offset:         156
        .size:           4
        .value_kind:     by_value
      - .offset:         160
        .size:           4
        .value_kind:     by_value
      - .offset:         164
        .size:           4
        .value_kind:     by_value
      - .offset:         168
        .size:           4
        .value_kind:     by_value
      - .offset:         172
        .size:           4
        .value_kind:     by_value
      - .offset:         176
        .size:           4
        .value_kind:     by_value
      - .offset:         180
        .size:           4
        .value_kind:     by_value
      - .offset:         184
        .size:           4
        .value_kind:     by_value
      - .offset:         192
        .size:           4
        .value_kind:     hidden_block_count_x
      - .offset:         196
        .size:           4
        .value_kind:     hidden_block_count_y
      - .offset:         200
        .size:           4
        .value_kind:     hidden_block_count_z
      - .offset:         204
        .size:           2
        .value_kind:     hidden_group_size_x
      - .offset:         206
        .size:           2
        .value_kind:     hidden_group_size_y
      - .offset:         208
        .size:           2
        .value_kind:     hidden_group_size_z
      - .offset:         210
        .size:           2
        .value_kind:     hidden_remainder_x
      - .offset:         212
        .size:           2
        .value_kind:     hidden_remainder_y
      - .offset:         214
        .size:           2
        .value_kind:     hidden_remainder_z
      - .offset:         232
        .size:           8
        .value_kind:     hidden_global_offset_x
      - .offset:         240
        .size:           8
        .value_kind:     hidden_global_offset_y
      - .offset:         248
        .size:           8
        .value_kind:     hidden_global_offset_z
      - .offset:         256
        .size:           2
        .value_kind:     hidden_grid_dims
    .group_segment_fixed_size: 0
    .kernarg_segment_align: 8
    .kernarg_segment_size: 448
    .language:       OpenCL C
    .language_version:
      - 2
      - 0
    .max_flat_workgroup_size: 1024
    .name:           _ZN2at6native12_GLOBAL__N_128conv_depthwise3d_cuda_kernelIddLin1ELin1ELin1ELin1ELin1ELin1EEEvN5torch10headeronly6detail27GenericPackedTensorAccessorINS5_14TensorAccessorIN3c108ArrayRefIlEEKT_Lm4ENS4_16DefaultPtrTraitsEiEENS_6detail16IndexBoundsCheckILm5EiEESC_Lm5ESD_iEENS6_INS7_ISA_SB_Lm4ESD_iEESH_SB_Lm5ESD_iEESI_PSC_iiiiiiiii
    .private_segment_fixed_size: 0
    .sgpr_count:     88
    .sgpr_spill_count: 0
    .symbol:         _ZN2at6native12_GLOBAL__N_128conv_depthwise3d_cuda_kernelIddLin1ELin1ELin1ELin1ELin1ELin1EEEvN5torch10headeronly6detail27GenericPackedTensorAccessorINS5_14TensorAccessorIN3c108ArrayRefIlEEKT_Lm4ENS4_16DefaultPtrTraitsEiEENS_6detail16IndexBoundsCheckILm5EiEESC_Lm5ESD_iEENS6_INS7_ISA_SB_Lm4ESD_iEESH_SB_Lm5ESD_iEESI_PSC_iiiiiiiii.kd
    .uniform_work_group_size: 1
    .uses_dynamic_stack: false
    .vgpr_count:     28
    .vgpr_spill_count: 0
    .wavefront_size: 64
  - .agpr_count:     0
    .args:
      - .offset:         0
        .size:           48
        .value_kind:     by_value
      - .offset:         48
        .size:           48
        .value_kind:     by_value
      - .offset:         96
        .size:           48
        .value_kind:     by_value
      - .address_space:  global
        .offset:         144
        .size:           8
        .value_kind:     global_buffer
      - .offset:         152
        .size:           4
        .value_kind:     by_value
      - .offset:         156
        .size:           4
        .value_kind:     by_value
      - .offset:         160
        .size:           4
        .value_kind:     by_value
      - .offset:         164
        .size:           4
        .value_kind:     by_value
      - .offset:         168
        .size:           4
        .value_kind:     by_value
      - .offset:         172
        .size:           4
        .value_kind:     by_value
      - .offset:         176
        .size:           4
        .value_kind:     by_value
      - .offset:         180
        .size:           4
        .value_kind:     by_value
      - .offset:         184
        .size:           4
        .value_kind:     by_value
      - .offset:         192
        .size:           4
        .value_kind:     hidden_block_count_x
      - .offset:         196
        .size:           4
        .value_kind:     hidden_block_count_y
      - .offset:         200
        .size:           4
        .value_kind:     hidden_block_count_z
      - .offset:         204
        .size:           2
        .value_kind:     hidden_group_size_x
      - .offset:         206
        .size:           2
        .value_kind:     hidden_group_size_y
      - .offset:         208
        .size:           2
        .value_kind:     hidden_group_size_z
      - .offset:         210
        .size:           2
        .value_kind:     hidden_remainder_x
      - .offset:         212
        .size:           2
        .value_kind:     hidden_remainder_y
      - .offset:         214
        .size:           2
        .value_kind:     hidden_remainder_z
      - .offset:         232
        .size:           8
        .value_kind:     hidden_global_offset_x
      - .offset:         240
        .size:           8
        .value_kind:     hidden_global_offset_y
      - .offset:         248
        .size:           8
        .value_kind:     hidden_global_offset_z
      - .offset:         256
        .size:           2
        .value_kind:     hidden_grid_dims
    .group_segment_fixed_size: 0
    .kernarg_segment_align: 8
    .kernarg_segment_size: 448
    .language:       OpenCL C
    .language_version:
      - 2
      - 0
    .max_flat_workgroup_size: 1024
    .name:           _ZN2at6native12_GLOBAL__N_128conv_depthwise3d_cuda_kernelIffLi3ELi3ELi3ELi1ELi1ELi1EEEvN5torch10headeronly6detail27GenericPackedTensorAccessorINS5_14TensorAccessorIN3c108ArrayRefIlEEKT_Lm4ENS4_16DefaultPtrTraitsEiEENS_6detail16IndexBoundsCheckILm5EiEESC_Lm5ESD_iEENS6_INS7_ISA_SB_Lm4ESD_iEESH_SB_Lm5ESD_iEESI_PSC_iiiiiiiii
    .private_segment_fixed_size: 0
    .sgpr_count:     96
    .sgpr_spill_count: 0
    .symbol:         _ZN2at6native12_GLOBAL__N_128conv_depthwise3d_cuda_kernelIffLi3ELi3ELi3ELi1ELi1ELi1EEEvN5torch10headeronly6detail27GenericPackedTensorAccessorINS5_14TensorAccessorIN3c108ArrayRefIlEEKT_Lm4ENS4_16DefaultPtrTraitsEiEENS_6detail16IndexBoundsCheckILm5EiEESC_Lm5ESD_iEENS6_INS7_ISA_SB_Lm4ESD_iEESH_SB_Lm5ESD_iEESI_PSC_iiiiiiiii.kd
    .uniform_work_group_size: 1
    .uses_dynamic_stack: false
    .vgpr_count:     24
    .vgpr_spill_count: 0
    .wavefront_size: 64
  - .agpr_count:     0
    .args:
      - .offset:         0
        .size:           48
        .value_kind:     by_value
      - .offset:         48
        .size:           48
        .value_kind:     by_value
      - .offset:         96
        .size:           48
        .value_kind:     by_value
      - .address_space:  global
        .offset:         144
        .size:           8
        .value_kind:     global_buffer
      - .offset:         152
        .size:           4
        .value_kind:     by_value
      - .offset:         156
        .size:           4
        .value_kind:     by_value
      - .offset:         160
        .size:           4
        .value_kind:     by_value
      - .offset:         164
        .size:           4
        .value_kind:     by_value
      - .offset:         168
        .size:           4
        .value_kind:     by_value
      - .offset:         172
        .size:           4
        .value_kind:     by_value
      - .offset:         176
        .size:           4
        .value_kind:     by_value
      - .offset:         180
        .size:           4
        .value_kind:     by_value
      - .offset:         184
        .size:           4
        .value_kind:     by_value
      - .offset:         192
        .size:           4
        .value_kind:     hidden_block_count_x
      - .offset:         196
        .size:           4
        .value_kind:     hidden_block_count_y
      - .offset:         200
        .size:           4
        .value_kind:     hidden_block_count_z
      - .offset:         204
        .size:           2
        .value_kind:     hidden_group_size_x
      - .offset:         206
        .size:           2
        .value_kind:     hidden_group_size_y
      - .offset:         208
        .size:           2
        .value_kind:     hidden_group_size_z
      - .offset:         210
        .size:           2
        .value_kind:     hidden_remainder_x
      - .offset:         212
        .size:           2
        .value_kind:     hidden_remainder_y
      - .offset:         214
        .size:           2
        .value_kind:     hidden_remainder_z
      - .offset:         232
        .size:           8
        .value_kind:     hidden_global_offset_x
      - .offset:         240
        .size:           8
        .value_kind:     hidden_global_offset_y
      - .offset:         248
        .size:           8
        .value_kind:     hidden_global_offset_z
      - .offset:         256
        .size:           2
        .value_kind:     hidden_grid_dims
    .group_segment_fixed_size: 0
    .kernarg_segment_align: 8
    .kernarg_segment_size: 448
    .language:       OpenCL C
    .language_version:
      - 2
      - 0
    .max_flat_workgroup_size: 1024
    .name:           _ZN2at6native12_GLOBAL__N_128conv_depthwise3d_cuda_kernelIffLin1ELin1ELin1ELi1ELi1ELi1EEEvN5torch10headeronly6detail27GenericPackedTensorAccessorINS5_14TensorAccessorIN3c108ArrayRefIlEEKT_Lm4ENS4_16DefaultPtrTraitsEiEENS_6detail16IndexBoundsCheckILm5EiEESC_Lm5ESD_iEENS6_INS7_ISA_SB_Lm4ESD_iEESH_SB_Lm5ESD_iEESI_PSC_iiiiiiiii
    .private_segment_fixed_size: 0
    .sgpr_count:     84
    .sgpr_spill_count: 0
    .symbol:         _ZN2at6native12_GLOBAL__N_128conv_depthwise3d_cuda_kernelIffLin1ELin1ELin1ELi1ELi1ELi1EEEvN5torch10headeronly6detail27GenericPackedTensorAccessorINS5_14TensorAccessorIN3c108ArrayRefIlEEKT_Lm4ENS4_16DefaultPtrTraitsEiEENS_6detail16IndexBoundsCheckILm5EiEESC_Lm5ESD_iEENS6_INS7_ISA_SB_Lm4ESD_iEESH_SB_Lm5ESD_iEESI_PSC_iiiiiiiii.kd
    .uniform_work_group_size: 1
    .uses_dynamic_stack: false
    .vgpr_count:     24
    .vgpr_spill_count: 0
    .wavefront_size: 64
  - .agpr_count:     0
    .args:
      - .offset:         0
        .size:           48
        .value_kind:     by_value
      - .offset:         48
        .size:           48
        .value_kind:     by_value
      - .offset:         96
        .size:           48
        .value_kind:     by_value
      - .address_space:  global
        .offset:         144
        .size:           8
        .value_kind:     global_buffer
      - .offset:         152
        .size:           4
        .value_kind:     by_value
      - .offset:         156
        .size:           4
        .value_kind:     by_value
      - .offset:         160
        .size:           4
        .value_kind:     by_value
      - .offset:         164
        .size:           4
        .value_kind:     by_value
      - .offset:         168
        .size:           4
        .value_kind:     by_value
      - .offset:         172
        .size:           4
        .value_kind:     by_value
      - .offset:         176
        .size:           4
        .value_kind:     by_value
      - .offset:         180
        .size:           4
        .value_kind:     by_value
      - .offset:         184
        .size:           4
        .value_kind:     by_value
      - .offset:         192
        .size:           4
        .value_kind:     hidden_block_count_x
      - .offset:         196
        .size:           4
        .value_kind:     hidden_block_count_y
      - .offset:         200
        .size:           4
        .value_kind:     hidden_block_count_z
      - .offset:         204
        .size:           2
        .value_kind:     hidden_group_size_x
      - .offset:         206
        .size:           2
        .value_kind:     hidden_group_size_y
      - .offset:         208
        .size:           2
        .value_kind:     hidden_group_size_z
      - .offset:         210
        .size:           2
        .value_kind:     hidden_remainder_x
      - .offset:         212
        .size:           2
        .value_kind:     hidden_remainder_y
      - .offset:         214
        .size:           2
        .value_kind:     hidden_remainder_z
      - .offset:         232
        .size:           8
        .value_kind:     hidden_global_offset_x
      - .offset:         240
        .size:           8
        .value_kind:     hidden_global_offset_y
      - .offset:         248
        .size:           8
        .value_kind:     hidden_global_offset_z
      - .offset:         256
        .size:           2
        .value_kind:     hidden_grid_dims
    .group_segment_fixed_size: 0
    .kernarg_segment_align: 8
    .kernarg_segment_size: 448
    .language:       OpenCL C
    .language_version:
      - 2
      - 0
    .max_flat_workgroup_size: 1024
    .name:           _ZN2at6native12_GLOBAL__N_128conv_depthwise3d_cuda_kernelIffLin1ELin1ELin1ELin1ELin1ELin1EEEvN5torch10headeronly6detail27GenericPackedTensorAccessorINS5_14TensorAccessorIN3c108ArrayRefIlEEKT_Lm4ENS4_16DefaultPtrTraitsEiEENS_6detail16IndexBoundsCheckILm5EiEESC_Lm5ESD_iEENS6_INS7_ISA_SB_Lm4ESD_iEESH_SB_Lm5ESD_iEESI_PSC_iiiiiiiii
    .private_segment_fixed_size: 0
    .sgpr_count:     88
    .sgpr_spill_count: 0
    .symbol:         _ZN2at6native12_GLOBAL__N_128conv_depthwise3d_cuda_kernelIffLin1ELin1ELin1ELin1ELin1ELin1EEEvN5torch10headeronly6detail27GenericPackedTensorAccessorINS5_14TensorAccessorIN3c108ArrayRefIlEEKT_Lm4ENS4_16DefaultPtrTraitsEiEENS_6detail16IndexBoundsCheckILm5EiEESC_Lm5ESD_iEENS6_INS7_ISA_SB_Lm4ESD_iEESH_SB_Lm5ESD_iEESI_PSC_iiiiiiiii.kd
    .uniform_work_group_size: 1
    .uses_dynamic_stack: false
    .vgpr_count:     24
    .vgpr_spill_count: 0
    .wavefront_size: 64
  - .agpr_count:     0
    .args:
      - .offset:         0
        .size:           48
        .value_kind:     by_value
      - .offset:         48
        .size:           48
        .value_kind:     by_value
      - .offset:         96
        .size:           48
        .value_kind:     by_value
      - .address_space:  global
        .offset:         144
        .size:           8
        .value_kind:     global_buffer
      - .offset:         152
        .size:           4
        .value_kind:     by_value
      - .offset:         156
        .size:           4
        .value_kind:     by_value
      - .offset:         160
        .size:           4
        .value_kind:     by_value
      - .offset:         164
        .size:           4
        .value_kind:     by_value
      - .offset:         168
        .size:           4
        .value_kind:     by_value
      - .offset:         172
        .size:           4
        .value_kind:     by_value
      - .offset:         176
        .size:           4
        .value_kind:     by_value
      - .offset:         180
        .size:           4
        .value_kind:     by_value
      - .offset:         184
        .size:           4
        .value_kind:     by_value
      - .offset:         192
        .size:           4
        .value_kind:     hidden_block_count_x
      - .offset:         196
        .size:           4
        .value_kind:     hidden_block_count_y
      - .offset:         200
        .size:           4
        .value_kind:     hidden_block_count_z
      - .offset:         204
        .size:           2
        .value_kind:     hidden_group_size_x
      - .offset:         206
        .size:           2
        .value_kind:     hidden_group_size_y
      - .offset:         208
        .size:           2
        .value_kind:     hidden_group_size_z
      - .offset:         210
        .size:           2
        .value_kind:     hidden_remainder_x
      - .offset:         212
        .size:           2
        .value_kind:     hidden_remainder_y
      - .offset:         214
        .size:           2
        .value_kind:     hidden_remainder_z
      - .offset:         232
        .size:           8
        .value_kind:     hidden_global_offset_x
      - .offset:         240
        .size:           8
        .value_kind:     hidden_global_offset_y
      - .offset:         248
        .size:           8
        .value_kind:     hidden_global_offset_z
      - .offset:         256
        .size:           2
        .value_kind:     hidden_grid_dims
    .group_segment_fixed_size: 0
    .kernarg_segment_align: 8
    .kernarg_segment_size: 448
    .language:       OpenCL C
    .language_version:
      - 2
      - 0
    .max_flat_workgroup_size: 1024
    .name:           _ZN2at6native12_GLOBAL__N_128conv_depthwise3d_cuda_kernelIN3c104HalfEfLi3ELi3ELi3ELi1ELi1ELi1EEEvN5torch10headeronly6detail27GenericPackedTensorAccessorINS7_14TensorAccessorINS3_8ArrayRefIlEEKT_Lm4ENS6_16DefaultPtrTraitsEiEENS_6detail16IndexBoundsCheckILm5EiEESD_Lm5ESE_iEENS8_INS9_ISB_SC_Lm4ESE_iEESI_SC_Lm5ESE_iEESJ_PSD_iiiiiiiii
    .private_segment_fixed_size: 0
    .sgpr_count:     96
    .sgpr_spill_count: 0
    .symbol:         _ZN2at6native12_GLOBAL__N_128conv_depthwise3d_cuda_kernelIN3c104HalfEfLi3ELi3ELi3ELi1ELi1ELi1EEEvN5torch10headeronly6detail27GenericPackedTensorAccessorINS7_14TensorAccessorINS3_8ArrayRefIlEEKT_Lm4ENS6_16DefaultPtrTraitsEiEENS_6detail16IndexBoundsCheckILm5EiEESD_Lm5ESE_iEENS8_INS9_ISB_SC_Lm4ESE_iEESI_SC_Lm5ESE_iEESJ_PSD_iiiiiiiii.kd
    .uniform_work_group_size: 1
    .uses_dynamic_stack: false
    .vgpr_count:     24
    .vgpr_spill_count: 0
    .wavefront_size: 64
  - .agpr_count:     0
    .args:
      - .offset:         0
        .size:           48
        .value_kind:     by_value
      - .offset:         48
        .size:           48
        .value_kind:     by_value
      - .offset:         96
        .size:           48
        .value_kind:     by_value
      - .address_space:  global
        .offset:         144
        .size:           8
        .value_kind:     global_buffer
      - .offset:         152
        .size:           4
        .value_kind:     by_value
      - .offset:         156
        .size:           4
        .value_kind:     by_value
      - .offset:         160
        .size:           4
        .value_kind:     by_value
      - .offset:         164
        .size:           4
        .value_kind:     by_value
      - .offset:         168
        .size:           4
        .value_kind:     by_value
      - .offset:         172
        .size:           4
        .value_kind:     by_value
      - .offset:         176
        .size:           4
        .value_kind:     by_value
      - .offset:         180
        .size:           4
        .value_kind:     by_value
      - .offset:         184
        .size:           4
        .value_kind:     by_value
      - .offset:         192
        .size:           4
        .value_kind:     hidden_block_count_x
      - .offset:         196
        .size:           4
        .value_kind:     hidden_block_count_y
      - .offset:         200
        .size:           4
        .value_kind:     hidden_block_count_z
      - .offset:         204
        .size:           2
        .value_kind:     hidden_group_size_x
      - .offset:         206
        .size:           2
        .value_kind:     hidden_group_size_y
      - .offset:         208
        .size:           2
        .value_kind:     hidden_group_size_z
      - .offset:         210
        .size:           2
        .value_kind:     hidden_remainder_x
      - .offset:         212
        .size:           2
        .value_kind:     hidden_remainder_y
      - .offset:         214
        .size:           2
        .value_kind:     hidden_remainder_z
      - .offset:         232
        .size:           8
        .value_kind:     hidden_global_offset_x
      - .offset:         240
        .size:           8
        .value_kind:     hidden_global_offset_y
      - .offset:         248
        .size:           8
        .value_kind:     hidden_global_offset_z
      - .offset:         256
        .size:           2
        .value_kind:     hidden_grid_dims
    .group_segment_fixed_size: 0
    .kernarg_segment_align: 8
    .kernarg_segment_size: 448
    .language:       OpenCL C
    .language_version:
      - 2
      - 0
    .max_flat_workgroup_size: 1024
    .name:           _ZN2at6native12_GLOBAL__N_128conv_depthwise3d_cuda_kernelIN3c104HalfEfLin1ELin1ELin1ELi1ELi1ELi1EEEvN5torch10headeronly6detail27GenericPackedTensorAccessorINS7_14TensorAccessorINS3_8ArrayRefIlEEKT_Lm4ENS6_16DefaultPtrTraitsEiEENS_6detail16IndexBoundsCheckILm5EiEESD_Lm5ESE_iEENS8_INS9_ISB_SC_Lm4ESE_iEESI_SC_Lm5ESE_iEESJ_PSD_iiiiiiiii
    .private_segment_fixed_size: 0
    .sgpr_count:     84
    .sgpr_spill_count: 0
    .symbol:         _ZN2at6native12_GLOBAL__N_128conv_depthwise3d_cuda_kernelIN3c104HalfEfLin1ELin1ELin1ELi1ELi1ELi1EEEvN5torch10headeronly6detail27GenericPackedTensorAccessorINS7_14TensorAccessorINS3_8ArrayRefIlEEKT_Lm4ENS6_16DefaultPtrTraitsEiEENS_6detail16IndexBoundsCheckILm5EiEESD_Lm5ESE_iEENS8_INS9_ISB_SC_Lm4ESE_iEESI_SC_Lm5ESE_iEESJ_PSD_iiiiiiiii.kd
    .uniform_work_group_size: 1
    .uses_dynamic_stack: false
    .vgpr_count:     24
    .vgpr_spill_count: 0
    .wavefront_size: 64
  - .agpr_count:     0
    .args:
      - .offset:         0
        .size:           48
        .value_kind:     by_value
      - .offset:         48
        .size:           48
        .value_kind:     by_value
      - .offset:         96
        .size:           48
        .value_kind:     by_value
      - .address_space:  global
        .offset:         144
        .size:           8
        .value_kind:     global_buffer
      - .offset:         152
        .size:           4
        .value_kind:     by_value
      - .offset:         156
        .size:           4
        .value_kind:     by_value
      - .offset:         160
        .size:           4
        .value_kind:     by_value
      - .offset:         164
        .size:           4
        .value_kind:     by_value
      - .offset:         168
        .size:           4
        .value_kind:     by_value
      - .offset:         172
        .size:           4
        .value_kind:     by_value
      - .offset:         176
        .size:           4
        .value_kind:     by_value
      - .offset:         180
        .size:           4
        .value_kind:     by_value
      - .offset:         184
        .size:           4
        .value_kind:     by_value
      - .offset:         192
        .size:           4
        .value_kind:     hidden_block_count_x
      - .offset:         196
        .size:           4
        .value_kind:     hidden_block_count_y
      - .offset:         200
        .size:           4
        .value_kind:     hidden_block_count_z
      - .offset:         204
        .size:           2
        .value_kind:     hidden_group_size_x
      - .offset:         206
        .size:           2
        .value_kind:     hidden_group_size_y
      - .offset:         208
        .size:           2
        .value_kind:     hidden_group_size_z
      - .offset:         210
        .size:           2
        .value_kind:     hidden_remainder_x
      - .offset:         212
        .size:           2
        .value_kind:     hidden_remainder_y
      - .offset:         214
        .size:           2
        .value_kind:     hidden_remainder_z
      - .offset:         232
        .size:           8
        .value_kind:     hidden_global_offset_x
      - .offset:         240
        .size:           8
        .value_kind:     hidden_global_offset_y
      - .offset:         248
        .size:           8
        .value_kind:     hidden_global_offset_z
      - .offset:         256
        .size:           2
        .value_kind:     hidden_grid_dims
    .group_segment_fixed_size: 0
    .kernarg_segment_align: 8
    .kernarg_segment_size: 448
    .language:       OpenCL C
    .language_version:
      - 2
      - 0
    .max_flat_workgroup_size: 1024
    .name:           _ZN2at6native12_GLOBAL__N_128conv_depthwise3d_cuda_kernelIN3c104HalfEfLin1ELin1ELin1ELin1ELin1ELin1EEEvN5torch10headeronly6detail27GenericPackedTensorAccessorINS7_14TensorAccessorINS3_8ArrayRefIlEEKT_Lm4ENS6_16DefaultPtrTraitsEiEENS_6detail16IndexBoundsCheckILm5EiEESD_Lm5ESE_iEENS8_INS9_ISB_SC_Lm4ESE_iEESI_SC_Lm5ESE_iEESJ_PSD_iiiiiiiii
    .private_segment_fixed_size: 0
    .sgpr_count:     88
    .sgpr_spill_count: 0
    .symbol:         _ZN2at6native12_GLOBAL__N_128conv_depthwise3d_cuda_kernelIN3c104HalfEfLin1ELin1ELin1ELin1ELin1ELin1EEEvN5torch10headeronly6detail27GenericPackedTensorAccessorINS7_14TensorAccessorINS3_8ArrayRefIlEEKT_Lm4ENS6_16DefaultPtrTraitsEiEENS_6detail16IndexBoundsCheckILm5EiEESD_Lm5ESE_iEENS8_INS9_ISB_SC_Lm4ESE_iEESI_SC_Lm5ESE_iEESJ_PSD_iiiiiiiii.kd
    .uniform_work_group_size: 1
    .uses_dynamic_stack: false
    .vgpr_count:     24
    .vgpr_spill_count: 0
    .wavefront_size: 64
  - .agpr_count:     0
    .args:
      - .offset:         0
        .size:           48
        .value_kind:     by_value
      - .offset:         48
        .size:           48
        .value_kind:     by_value
      - .offset:         96
        .size:           48
        .value_kind:     by_value
      - .address_space:  global
        .offset:         144
        .size:           8
        .value_kind:     global_buffer
      - .offset:         152
        .size:           4
        .value_kind:     by_value
      - .offset:         156
        .size:           4
        .value_kind:     by_value
      - .offset:         160
        .size:           4
        .value_kind:     by_value
      - .offset:         164
        .size:           4
        .value_kind:     by_value
      - .offset:         168
        .size:           4
        .value_kind:     by_value
      - .offset:         172
        .size:           4
        .value_kind:     by_value
      - .offset:         176
        .size:           4
        .value_kind:     by_value
      - .offset:         180
        .size:           4
        .value_kind:     by_value
      - .offset:         184
        .size:           4
        .value_kind:     by_value
      - .offset:         192
        .size:           4
        .value_kind:     hidden_block_count_x
      - .offset:         196
        .size:           4
        .value_kind:     hidden_block_count_y
      - .offset:         200
        .size:           4
        .value_kind:     hidden_block_count_z
      - .offset:         204
        .size:           2
        .value_kind:     hidden_group_size_x
      - .offset:         206
        .size:           2
        .value_kind:     hidden_group_size_y
      - .offset:         208
        .size:           2
        .value_kind:     hidden_group_size_z
      - .offset:         210
        .size:           2
        .value_kind:     hidden_remainder_x
      - .offset:         212
        .size:           2
        .value_kind:     hidden_remainder_y
      - .offset:         214
        .size:           2
        .value_kind:     hidden_remainder_z
      - .offset:         232
        .size:           8
        .value_kind:     hidden_global_offset_x
      - .offset:         240
        .size:           8
        .value_kind:     hidden_global_offset_y
      - .offset:         248
        .size:           8
        .value_kind:     hidden_global_offset_z
      - .offset:         256
        .size:           2
        .value_kind:     hidden_grid_dims
    .group_segment_fixed_size: 0
    .kernarg_segment_align: 8
    .kernarg_segment_size: 448
    .language:       OpenCL C
    .language_version:
      - 2
      - 0
    .max_flat_workgroup_size: 1024
    .name:           _ZN2at6native12_GLOBAL__N_128conv_depthwise3d_cuda_kernelIN3c108BFloat16EfLi3ELi3ELi3ELi1ELi1ELi1EEEvN5torch10headeronly6detail27GenericPackedTensorAccessorINS7_14TensorAccessorINS3_8ArrayRefIlEEKT_Lm4ENS6_16DefaultPtrTraitsEiEENS_6detail16IndexBoundsCheckILm5EiEESD_Lm5ESE_iEENS8_INS9_ISB_SC_Lm4ESE_iEESI_SC_Lm5ESE_iEESJ_PSD_iiiiiiiii
    .private_segment_fixed_size: 0
    .sgpr_count:     96
    .sgpr_spill_count: 0
    .symbol:         _ZN2at6native12_GLOBAL__N_128conv_depthwise3d_cuda_kernelIN3c108BFloat16EfLi3ELi3ELi3ELi1ELi1ELi1EEEvN5torch10headeronly6detail27GenericPackedTensorAccessorINS7_14TensorAccessorINS3_8ArrayRefIlEEKT_Lm4ENS6_16DefaultPtrTraitsEiEENS_6detail16IndexBoundsCheckILm5EiEESD_Lm5ESE_iEENS8_INS9_ISB_SC_Lm4ESE_iEESI_SC_Lm5ESE_iEESJ_PSD_iiiiiiiii.kd
    .uniform_work_group_size: 1
    .uses_dynamic_stack: false
    .vgpr_count:     24
    .vgpr_spill_count: 0
    .wavefront_size: 64
  - .agpr_count:     0
    .args:
      - .offset:         0
        .size:           48
        .value_kind:     by_value
      - .offset:         48
        .size:           48
        .value_kind:     by_value
      - .offset:         96
        .size:           48
        .value_kind:     by_value
      - .address_space:  global
        .offset:         144
        .size:           8
        .value_kind:     global_buffer
      - .offset:         152
        .size:           4
        .value_kind:     by_value
      - .offset:         156
        .size:           4
        .value_kind:     by_value
      - .offset:         160
        .size:           4
        .value_kind:     by_value
      - .offset:         164
        .size:           4
        .value_kind:     by_value
      - .offset:         168
        .size:           4
        .value_kind:     by_value
      - .offset:         172
        .size:           4
        .value_kind:     by_value
      - .offset:         176
        .size:           4
        .value_kind:     by_value
      - .offset:         180
        .size:           4
        .value_kind:     by_value
      - .offset:         184
        .size:           4
        .value_kind:     by_value
      - .offset:         192
        .size:           4
        .value_kind:     hidden_block_count_x
      - .offset:         196
        .size:           4
        .value_kind:     hidden_block_count_y
      - .offset:         200
        .size:           4
        .value_kind:     hidden_block_count_z
      - .offset:         204
        .size:           2
        .value_kind:     hidden_group_size_x
      - .offset:         206
        .size:           2
        .value_kind:     hidden_group_size_y
      - .offset:         208
        .size:           2
        .value_kind:     hidden_group_size_z
      - .offset:         210
        .size:           2
        .value_kind:     hidden_remainder_x
      - .offset:         212
        .size:           2
        .value_kind:     hidden_remainder_y
      - .offset:         214
        .size:           2
        .value_kind:     hidden_remainder_z
      - .offset:         232
        .size:           8
        .value_kind:     hidden_global_offset_x
      - .offset:         240
        .size:           8
        .value_kind:     hidden_global_offset_y
      - .offset:         248
        .size:           8
        .value_kind:     hidden_global_offset_z
      - .offset:         256
        .size:           2
        .value_kind:     hidden_grid_dims
    .group_segment_fixed_size: 0
    .kernarg_segment_align: 8
    .kernarg_segment_size: 448
    .language:       OpenCL C
    .language_version:
      - 2
      - 0
    .max_flat_workgroup_size: 1024
    .name:           _ZN2at6native12_GLOBAL__N_128conv_depthwise3d_cuda_kernelIN3c108BFloat16EfLin1ELin1ELin1ELi1ELi1ELi1EEEvN5torch10headeronly6detail27GenericPackedTensorAccessorINS7_14TensorAccessorINS3_8ArrayRefIlEEKT_Lm4ENS6_16DefaultPtrTraitsEiEENS_6detail16IndexBoundsCheckILm5EiEESD_Lm5ESE_iEENS8_INS9_ISB_SC_Lm4ESE_iEESI_SC_Lm5ESE_iEESJ_PSD_iiiiiiiii
    .private_segment_fixed_size: 0
    .sgpr_count:     84
    .sgpr_spill_count: 0
    .symbol:         _ZN2at6native12_GLOBAL__N_128conv_depthwise3d_cuda_kernelIN3c108BFloat16EfLin1ELin1ELin1ELi1ELi1ELi1EEEvN5torch10headeronly6detail27GenericPackedTensorAccessorINS7_14TensorAccessorINS3_8ArrayRefIlEEKT_Lm4ENS6_16DefaultPtrTraitsEiEENS_6detail16IndexBoundsCheckILm5EiEESD_Lm5ESE_iEENS8_INS9_ISB_SC_Lm4ESE_iEESI_SC_Lm5ESE_iEESJ_PSD_iiiiiiiii.kd
    .uniform_work_group_size: 1
    .uses_dynamic_stack: false
    .vgpr_count:     25
    .vgpr_spill_count: 0
    .wavefront_size: 64
  - .agpr_count:     0
    .args:
      - .offset:         0
        .size:           48
        .value_kind:     by_value
      - .offset:         48
        .size:           48
        .value_kind:     by_value
      - .offset:         96
        .size:           48
        .value_kind:     by_value
      - .address_space:  global
        .offset:         144
        .size:           8
        .value_kind:     global_buffer
      - .offset:         152
        .size:           4
        .value_kind:     by_value
      - .offset:         156
        .size:           4
        .value_kind:     by_value
      - .offset:         160
        .size:           4
        .value_kind:     by_value
      - .offset:         164
        .size:           4
        .value_kind:     by_value
      - .offset:         168
        .size:           4
        .value_kind:     by_value
      - .offset:         172
        .size:           4
        .value_kind:     by_value
      - .offset:         176
        .size:           4
        .value_kind:     by_value
      - .offset:         180
        .size:           4
        .value_kind:     by_value
      - .offset:         184
        .size:           4
        .value_kind:     by_value
      - .offset:         192
        .size:           4
        .value_kind:     hidden_block_count_x
      - .offset:         196
        .size:           4
        .value_kind:     hidden_block_count_y
      - .offset:         200
        .size:           4
        .value_kind:     hidden_block_count_z
      - .offset:         204
        .size:           2
        .value_kind:     hidden_group_size_x
      - .offset:         206
        .size:           2
        .value_kind:     hidden_group_size_y
      - .offset:         208
        .size:           2
        .value_kind:     hidden_group_size_z
      - .offset:         210
        .size:           2
        .value_kind:     hidden_remainder_x
      - .offset:         212
        .size:           2
        .value_kind:     hidden_remainder_y
      - .offset:         214
        .size:           2
        .value_kind:     hidden_remainder_z
      - .offset:         232
        .size:           8
        .value_kind:     hidden_global_offset_x
      - .offset:         240
        .size:           8
        .value_kind:     hidden_global_offset_y
      - .offset:         248
        .size:           8
        .value_kind:     hidden_global_offset_z
      - .offset:         256
        .size:           2
        .value_kind:     hidden_grid_dims
    .group_segment_fixed_size: 0
    .kernarg_segment_align: 8
    .kernarg_segment_size: 448
    .language:       OpenCL C
    .language_version:
      - 2
      - 0
    .max_flat_workgroup_size: 1024
    .name:           _ZN2at6native12_GLOBAL__N_128conv_depthwise3d_cuda_kernelIN3c108BFloat16EfLin1ELin1ELin1ELin1ELin1ELin1EEEvN5torch10headeronly6detail27GenericPackedTensorAccessorINS7_14TensorAccessorINS3_8ArrayRefIlEEKT_Lm4ENS6_16DefaultPtrTraitsEiEENS_6detail16IndexBoundsCheckILm5EiEESD_Lm5ESE_iEENS8_INS9_ISB_SC_Lm4ESE_iEESI_SC_Lm5ESE_iEESJ_PSD_iiiiiiiii
    .private_segment_fixed_size: 0
    .sgpr_count:     90
    .sgpr_spill_count: 0
    .symbol:         _ZN2at6native12_GLOBAL__N_128conv_depthwise3d_cuda_kernelIN3c108BFloat16EfLin1ELin1ELin1ELin1ELin1ELin1EEEvN5torch10headeronly6detail27GenericPackedTensorAccessorINS7_14TensorAccessorINS3_8ArrayRefIlEEKT_Lm4ENS6_16DefaultPtrTraitsEiEENS_6detail16IndexBoundsCheckILm5EiEESD_Lm5ESE_iEENS8_INS9_ISB_SC_Lm4ESE_iEESI_SC_Lm5ESE_iEESJ_PSD_iiiiiiiii.kd
    .uniform_work_group_size: 1
    .uses_dynamic_stack: false
    .vgpr_count:     25
    .vgpr_spill_count: 0
    .wavefront_size: 64
  - .agpr_count:     0
    .args:
      - .offset:         0
        .size:           48
        .value_kind:     by_value
      - .offset:         48
        .size:           48
        .value_kind:     by_value
      - .offset:         96
        .size:           48
        .value_kind:     by_value
      - .offset:         144
        .size:           4
        .value_kind:     by_value
      - .offset:         148
        .size:           4
        .value_kind:     by_value
      - .offset:         152
        .size:           4
        .value_kind:     by_value
      - .offset:         156
        .size:           4
        .value_kind:     by_value
      - .offset:         160
        .size:           4
        .value_kind:     by_value
      - .offset:         164
        .size:           4
        .value_kind:     by_value
      - .offset:         168
        .size:           4
        .value_kind:     by_value
      - .offset:         172
        .size:           4
        .value_kind:     by_value
      - .offset:         176
        .size:           4
        .value_kind:     by_value
      - .offset:         184
        .size:           4
        .value_kind:     hidden_block_count_x
      - .offset:         188
        .size:           4
        .value_kind:     hidden_block_count_y
      - .offset:         192
        .size:           4
        .value_kind:     hidden_block_count_z
      - .offset:         196
        .size:           2
        .value_kind:     hidden_group_size_x
      - .offset:         198
        .size:           2
        .value_kind:     hidden_group_size_y
      - .offset:         200
        .size:           2
        .value_kind:     hidden_group_size_z
      - .offset:         202
        .size:           2
        .value_kind:     hidden_remainder_x
      - .offset:         204
        .size:           2
        .value_kind:     hidden_remainder_y
      - .offset:         206
        .size:           2
        .value_kind:     hidden_remainder_z
      - .offset:         224
        .size:           8
        .value_kind:     hidden_global_offset_x
      - .offset:         232
        .size:           8
        .value_kind:     hidden_global_offset_y
      - .offset:         240
        .size:           8
        .value_kind:     hidden_global_offset_z
      - .offset:         248
        .size:           2
        .value_kind:     hidden_grid_dims
    .group_segment_fixed_size: 0
    .kernarg_segment_align: 8
    .kernarg_segment_size: 440
    .language:       OpenCL C
    .language_version:
      - 2
      - 0
    .max_flat_workgroup_size: 1024
    .name:           _ZN2at6native12_GLOBAL__N_143conv_depthwise3d_cuda_backward_input_kernelIddLi3ELi3ELi3ELi1ELi1ELi1ELi1ELi1ELi1EEEvN5torch10headeronly6detail27GenericPackedTensorAccessorINS5_14TensorAccessorIN3c108ArrayRefIlEEKT_Lm4ENS4_16DefaultPtrTraitsEiEENS_6detail16IndexBoundsCheckILm5EiEESC_Lm5ESD_iEENS6_INS7_ISA_SB_Lm4ESD_iEESH_SB_Lm5ESD_iEESI_iiiiiiiii
    .private_segment_fixed_size: 236
    .sgpr_count:     106
    .sgpr_spill_count: 2
    .symbol:         _ZN2at6native12_GLOBAL__N_143conv_depthwise3d_cuda_backward_input_kernelIddLi3ELi3ELi3ELi1ELi1ELi1ELi1ELi1ELi1EEEvN5torch10headeronly6detail27GenericPackedTensorAccessorINS5_14TensorAccessorIN3c108ArrayRefIlEEKT_Lm4ENS4_16DefaultPtrTraitsEiEENS_6detail16IndexBoundsCheckILm5EiEESC_Lm5ESD_iEENS6_INS7_ISA_SB_Lm4ESD_iEESH_SB_Lm5ESD_iEESI_iiiiiiiii.kd
    .uniform_work_group_size: 1
    .uses_dynamic_stack: false
    .vgpr_count:     128
    .vgpr_spill_count: 58
    .wavefront_size: 64
  - .agpr_count:     0
    .args:
      - .offset:         0
        .size:           48
        .value_kind:     by_value
      - .offset:         48
        .size:           48
        .value_kind:     by_value
      - .offset:         96
        .size:           48
        .value_kind:     by_value
      - .offset:         144
        .size:           4
        .value_kind:     by_value
      - .offset:         148
        .size:           4
        .value_kind:     by_value
      - .offset:         152
        .size:           4
        .value_kind:     by_value
      - .offset:         156
        .size:           4
        .value_kind:     by_value
      - .offset:         160
        .size:           4
        .value_kind:     by_value
      - .offset:         164
        .size:           4
        .value_kind:     by_value
      - .offset:         168
        .size:           4
        .value_kind:     by_value
      - .offset:         172
        .size:           4
        .value_kind:     by_value
      - .offset:         176
        .size:           4
        .value_kind:     by_value
      - .offset:         184
        .size:           4
        .value_kind:     hidden_block_count_x
      - .offset:         188
        .size:           4
        .value_kind:     hidden_block_count_y
      - .offset:         192
        .size:           4
        .value_kind:     hidden_block_count_z
      - .offset:         196
        .size:           2
        .value_kind:     hidden_group_size_x
      - .offset:         198
        .size:           2
        .value_kind:     hidden_group_size_y
      - .offset:         200
        .size:           2
        .value_kind:     hidden_group_size_z
      - .offset:         202
        .size:           2
        .value_kind:     hidden_remainder_x
      - .offset:         204
        .size:           2
        .value_kind:     hidden_remainder_y
      - .offset:         206
        .size:           2
        .value_kind:     hidden_remainder_z
      - .offset:         224
        .size:           8
        .value_kind:     hidden_global_offset_x
      - .offset:         232
        .size:           8
        .value_kind:     hidden_global_offset_y
      - .offset:         240
        .size:           8
        .value_kind:     hidden_global_offset_z
      - .offset:         248
        .size:           2
        .value_kind:     hidden_grid_dims
    .group_segment_fixed_size: 0
    .kernarg_segment_align: 8
    .kernarg_segment_size: 440
    .language:       OpenCL C
    .language_version:
      - 2
      - 0
    .max_flat_workgroup_size: 1024
    .name:           _ZN2at6native12_GLOBAL__N_143conv_depthwise3d_cuda_backward_input_kernelIddLi3ELi3ELi3ELi1ELi1ELi1ELin1ELin1ELin1EEEvN5torch10headeronly6detail27GenericPackedTensorAccessorINS5_14TensorAccessorIN3c108ArrayRefIlEEKT_Lm4ENS4_16DefaultPtrTraitsEiEENS_6detail16IndexBoundsCheckILm5EiEESC_Lm5ESD_iEENS6_INS7_ISA_SB_Lm4ESD_iEESH_SB_Lm5ESD_iEESI_iiiiiiiii
    .private_segment_fixed_size: 252
    .sgpr_count:     106
    .sgpr_spill_count: 65
    .symbol:         _ZN2at6native12_GLOBAL__N_143conv_depthwise3d_cuda_backward_input_kernelIddLi3ELi3ELi3ELi1ELi1ELi1ELin1ELin1ELin1EEEvN5torch10headeronly6detail27GenericPackedTensorAccessorINS5_14TensorAccessorIN3c108ArrayRefIlEEKT_Lm4ENS4_16DefaultPtrTraitsEiEENS_6detail16IndexBoundsCheckILm5EiEESC_Lm5ESD_iEENS6_INS7_ISA_SB_Lm4ESD_iEESH_SB_Lm5ESD_iEESI_iiiiiiiii.kd
    .uniform_work_group_size: 1
    .uses_dynamic_stack: false
    .vgpr_count:     128
    .vgpr_spill_count: 62
    .wavefront_size: 64
  - .agpr_count:     0
    .args:
      - .offset:         0
        .size:           48
        .value_kind:     by_value
      - .offset:         48
        .size:           48
        .value_kind:     by_value
      - .offset:         96
        .size:           48
        .value_kind:     by_value
      - .offset:         144
        .size:           4
        .value_kind:     by_value
      - .offset:         148
        .size:           4
        .value_kind:     by_value
      - .offset:         152
        .size:           4
        .value_kind:     by_value
      - .offset:         156
        .size:           4
        .value_kind:     by_value
      - .offset:         160
        .size:           4
        .value_kind:     by_value
      - .offset:         164
        .size:           4
        .value_kind:     by_value
      - .offset:         168
        .size:           4
        .value_kind:     by_value
      - .offset:         172
        .size:           4
        .value_kind:     by_value
      - .offset:         176
        .size:           4
        .value_kind:     by_value
      - .offset:         184
        .size:           4
        .value_kind:     hidden_block_count_x
      - .offset:         188
        .size:           4
        .value_kind:     hidden_block_count_y
      - .offset:         192
        .size:           4
        .value_kind:     hidden_block_count_z
      - .offset:         196
        .size:           2
        .value_kind:     hidden_group_size_x
      - .offset:         198
        .size:           2
        .value_kind:     hidden_group_size_y
      - .offset:         200
        .size:           2
        .value_kind:     hidden_group_size_z
      - .offset:         202
        .size:           2
        .value_kind:     hidden_remainder_x
      - .offset:         204
        .size:           2
        .value_kind:     hidden_remainder_y
      - .offset:         206
        .size:           2
        .value_kind:     hidden_remainder_z
      - .offset:         224
        .size:           8
        .value_kind:     hidden_global_offset_x
      - .offset:         232
        .size:           8
        .value_kind:     hidden_global_offset_y
      - .offset:         240
        .size:           8
        .value_kind:     hidden_global_offset_z
      - .offset:         248
        .size:           2
        .value_kind:     hidden_grid_dims
    .group_segment_fixed_size: 0
    .kernarg_segment_align: 8
    .kernarg_segment_size: 440
    .language:       OpenCL C
    .language_version:
      - 2
      - 0
    .max_flat_workgroup_size: 1024
    .name:           _ZN2at6native12_GLOBAL__N_143conv_depthwise3d_cuda_backward_input_kernelIddLi3ELi3ELi3ELin1ELin1ELin1ELi1ELi1ELi1EEEvN5torch10headeronly6detail27GenericPackedTensorAccessorINS5_14TensorAccessorIN3c108ArrayRefIlEEKT_Lm4ENS4_16DefaultPtrTraitsEiEENS_6detail16IndexBoundsCheckILm5EiEESC_Lm5ESD_iEENS6_INS7_ISA_SB_Lm4ESD_iEESH_SB_Lm5ESD_iEESI_iiiiiiiii
    .private_segment_fixed_size: 236
    .sgpr_count:     106
    .sgpr_spill_count: 6
    .symbol:         _ZN2at6native12_GLOBAL__N_143conv_depthwise3d_cuda_backward_input_kernelIddLi3ELi3ELi3ELin1ELin1ELin1ELi1ELi1ELi1EEEvN5torch10headeronly6detail27GenericPackedTensorAccessorINS5_14TensorAccessorIN3c108ArrayRefIlEEKT_Lm4ENS4_16DefaultPtrTraitsEiEENS_6detail16IndexBoundsCheckILm5EiEESC_Lm5ESD_iEENS6_INS7_ISA_SB_Lm4ESD_iEESH_SB_Lm5ESD_iEESI_iiiiiiiii.kd
    .uniform_work_group_size: 1
    .uses_dynamic_stack: false
    .vgpr_count:     128
    .vgpr_spill_count: 58
    .wavefront_size: 64
  - .agpr_count:     0
    .args:
      - .offset:         0
        .size:           48
        .value_kind:     by_value
      - .offset:         48
        .size:           48
        .value_kind:     by_value
      - .offset:         96
        .size:           48
        .value_kind:     by_value
      - .offset:         144
        .size:           4
        .value_kind:     by_value
      - .offset:         148
        .size:           4
        .value_kind:     by_value
      - .offset:         152
        .size:           4
        .value_kind:     by_value
      - .offset:         156
        .size:           4
        .value_kind:     by_value
      - .offset:         160
        .size:           4
        .value_kind:     by_value
      - .offset:         164
        .size:           4
        .value_kind:     by_value
      - .offset:         168
        .size:           4
        .value_kind:     by_value
      - .offset:         172
        .size:           4
        .value_kind:     by_value
      - .offset:         176
        .size:           4
        .value_kind:     by_value
      - .offset:         184
        .size:           4
        .value_kind:     hidden_block_count_x
      - .offset:         188
        .size:           4
        .value_kind:     hidden_block_count_y
      - .offset:         192
        .size:           4
        .value_kind:     hidden_block_count_z
      - .offset:         196
        .size:           2
        .value_kind:     hidden_group_size_x
      - .offset:         198
        .size:           2
        .value_kind:     hidden_group_size_y
      - .offset:         200
        .size:           2
        .value_kind:     hidden_group_size_z
      - .offset:         202
        .size:           2
        .value_kind:     hidden_remainder_x
      - .offset:         204
        .size:           2
        .value_kind:     hidden_remainder_y
      - .offset:         206
        .size:           2
        .value_kind:     hidden_remainder_z
      - .offset:         224
        .size:           8
        .value_kind:     hidden_global_offset_x
      - .offset:         232
        .size:           8
        .value_kind:     hidden_global_offset_y
      - .offset:         240
        .size:           8
        .value_kind:     hidden_global_offset_z
      - .offset:         248
        .size:           2
        .value_kind:     hidden_grid_dims
    .group_segment_fixed_size: 0
    .kernarg_segment_align: 8
    .kernarg_segment_size: 440
    .language:       OpenCL C
    .language_version:
      - 2
      - 0
    .max_flat_workgroup_size: 1024
    .name:           _ZN2at6native12_GLOBAL__N_143conv_depthwise3d_cuda_backward_input_kernelIddLi3ELi3ELi3ELin1ELin1ELin1ELin1ELin1ELin1EEEvN5torch10headeronly6detail27GenericPackedTensorAccessorINS5_14TensorAccessorIN3c108ArrayRefIlEEKT_Lm4ENS4_16DefaultPtrTraitsEiEENS_6detail16IndexBoundsCheckILm5EiEESC_Lm5ESD_iEENS6_INS7_ISA_SB_Lm4ESD_iEESH_SB_Lm5ESD_iEESI_iiiiiiiii
    .private_segment_fixed_size: 252
    .sgpr_count:     106
    .sgpr_spill_count: 71
    .symbol:         _ZN2at6native12_GLOBAL__N_143conv_depthwise3d_cuda_backward_input_kernelIddLi3ELi3ELi3ELin1ELin1ELin1ELin1ELin1ELin1EEEvN5torch10headeronly6detail27GenericPackedTensorAccessorINS5_14TensorAccessorIN3c108ArrayRefIlEEKT_Lm4ENS4_16DefaultPtrTraitsEiEENS_6detail16IndexBoundsCheckILm5EiEESC_Lm5ESD_iEENS6_INS7_ISA_SB_Lm4ESD_iEESH_SB_Lm5ESD_iEESI_iiiiiiiii.kd
    .uniform_work_group_size: 1
    .uses_dynamic_stack: false
    .vgpr_count:     128
    .vgpr_spill_count: 62
    .wavefront_size: 64
  - .agpr_count:     0
    .args:
      - .offset:         0
        .size:           48
        .value_kind:     by_value
      - .offset:         48
        .size:           48
        .value_kind:     by_value
      - .offset:         96
        .size:           48
        .value_kind:     by_value
      - .offset:         144
        .size:           4
        .value_kind:     by_value
      - .offset:         148
        .size:           4
        .value_kind:     by_value
      - .offset:         152
        .size:           4
        .value_kind:     by_value
      - .offset:         156
        .size:           4
        .value_kind:     by_value
      - .offset:         160
        .size:           4
        .value_kind:     by_value
      - .offset:         164
        .size:           4
        .value_kind:     by_value
      - .offset:         168
        .size:           4
        .value_kind:     by_value
      - .offset:         172
        .size:           4
        .value_kind:     by_value
      - .offset:         176
        .size:           4
        .value_kind:     by_value
      - .offset:         184
        .size:           4
        .value_kind:     hidden_block_count_x
      - .offset:         188
        .size:           4
        .value_kind:     hidden_block_count_y
      - .offset:         192
        .size:           4
        .value_kind:     hidden_block_count_z
      - .offset:         196
        .size:           2
        .value_kind:     hidden_group_size_x
      - .offset:         198
        .size:           2
        .value_kind:     hidden_group_size_y
      - .offset:         200
        .size:           2
        .value_kind:     hidden_group_size_z
      - .offset:         202
        .size:           2
        .value_kind:     hidden_remainder_x
      - .offset:         204
        .size:           2
        .value_kind:     hidden_remainder_y
      - .offset:         206
        .size:           2
        .value_kind:     hidden_remainder_z
      - .offset:         224
        .size:           8
        .value_kind:     hidden_global_offset_x
      - .offset:         232
        .size:           8
        .value_kind:     hidden_global_offset_y
      - .offset:         240
        .size:           8
        .value_kind:     hidden_global_offset_z
      - .offset:         248
        .size:           2
        .value_kind:     hidden_grid_dims
    .group_segment_fixed_size: 0
    .kernarg_segment_align: 8
    .kernarg_segment_size: 440
    .language:       OpenCL C
    .language_version:
      - 2
      - 0
    .max_flat_workgroup_size: 1024
    .name:           _ZN2at6native12_GLOBAL__N_143conv_depthwise3d_cuda_backward_input_kernelIddLin1ELin1ELin1ELin1ELin1ELin1ELin1ELin1ELin1EEEvN5torch10headeronly6detail27GenericPackedTensorAccessorINS5_14TensorAccessorIN3c108ArrayRefIlEEKT_Lm4ENS4_16DefaultPtrTraitsEiEENS_6detail16IndexBoundsCheckILm5EiEESC_Lm5ESD_iEENS6_INS7_ISA_SB_Lm4ESD_iEESH_SB_Lm5ESD_iEESI_iiiiiiiii
    .private_segment_fixed_size: 0
    .sgpr_count:     88
    .sgpr_spill_count: 0
    .symbol:         _ZN2at6native12_GLOBAL__N_143conv_depthwise3d_cuda_backward_input_kernelIddLin1ELin1ELin1ELin1ELin1ELin1ELin1ELin1ELin1EEEvN5torch10headeronly6detail27GenericPackedTensorAccessorINS5_14TensorAccessorIN3c108ArrayRefIlEEKT_Lm4ENS4_16DefaultPtrTraitsEiEENS_6detail16IndexBoundsCheckILm5EiEESC_Lm5ESD_iEENS6_INS7_ISA_SB_Lm4ESD_iEESH_SB_Lm5ESD_iEESI_iiiiiiiii.kd
    .uniform_work_group_size: 1
    .uses_dynamic_stack: false
    .vgpr_count:     36
    .vgpr_spill_count: 0
    .wavefront_size: 64
  - .agpr_count:     0
    .args:
      - .offset:         0
        .size:           48
        .value_kind:     by_value
      - .offset:         48
        .size:           48
        .value_kind:     by_value
      - .offset:         96
        .size:           48
        .value_kind:     by_value
      - .offset:         144
        .size:           4
        .value_kind:     by_value
      - .offset:         148
        .size:           4
        .value_kind:     by_value
      - .offset:         152
        .size:           4
        .value_kind:     by_value
      - .offset:         156
        .size:           4
        .value_kind:     by_value
      - .offset:         160
        .size:           4
        .value_kind:     by_value
      - .offset:         164
        .size:           4
        .value_kind:     by_value
      - .offset:         168
        .size:           4
        .value_kind:     by_value
      - .offset:         172
        .size:           4
        .value_kind:     by_value
      - .offset:         176
        .size:           4
        .value_kind:     by_value
      - .offset:         184
        .size:           4
        .value_kind:     hidden_block_count_x
      - .offset:         188
        .size:           4
        .value_kind:     hidden_block_count_y
      - .offset:         192
        .size:           4
        .value_kind:     hidden_block_count_z
      - .offset:         196
        .size:           2
        .value_kind:     hidden_group_size_x
      - .offset:         198
        .size:           2
        .value_kind:     hidden_group_size_y
      - .offset:         200
        .size:           2
        .value_kind:     hidden_group_size_z
      - .offset:         202
        .size:           2
        .value_kind:     hidden_remainder_x
      - .offset:         204
        .size:           2
        .value_kind:     hidden_remainder_y
      - .offset:         206
        .size:           2
        .value_kind:     hidden_remainder_z
      - .offset:         224
        .size:           8
        .value_kind:     hidden_global_offset_x
      - .offset:         232
        .size:           8
        .value_kind:     hidden_global_offset_y
      - .offset:         240
        .size:           8
        .value_kind:     hidden_global_offset_z
      - .offset:         248
        .size:           2
        .value_kind:     hidden_grid_dims
    .group_segment_fixed_size: 0
    .kernarg_segment_align: 8
    .kernarg_segment_size: 440
    .language:       OpenCL C
    .language_version:
      - 2
      - 0
    .max_flat_workgroup_size: 1024
    .name:           _ZN2at6native12_GLOBAL__N_143conv_depthwise3d_cuda_backward_input_kernelIffLi3ELi3ELi3ELi1ELi1ELi1ELi1ELi1ELi1EEEvN5torch10headeronly6detail27GenericPackedTensorAccessorINS5_14TensorAccessorIN3c108ArrayRefIlEEKT_Lm4ENS4_16DefaultPtrTraitsEiEENS_6detail16IndexBoundsCheckILm5EiEESC_Lm5ESD_iEENS6_INS7_ISA_SB_Lm4ESD_iEESH_SB_Lm5ESD_iEESI_iiiiiiiii
    .private_segment_fixed_size: 12
    .sgpr_count:     106
    .sgpr_spill_count: 2
    .symbol:         _ZN2at6native12_GLOBAL__N_143conv_depthwise3d_cuda_backward_input_kernelIffLi3ELi3ELi3ELi1ELi1ELi1ELi1ELi1ELi1EEEvN5torch10headeronly6detail27GenericPackedTensorAccessorINS5_14TensorAccessorIN3c108ArrayRefIlEEKT_Lm4ENS4_16DefaultPtrTraitsEiEENS_6detail16IndexBoundsCheckILm5EiEESC_Lm5ESD_iEENS6_INS7_ISA_SB_Lm4ESD_iEESH_SB_Lm5ESD_iEESI_iiiiiiiii.kd
    .uniform_work_group_size: 1
    .uses_dynamic_stack: false
    .vgpr_count:     128
    .vgpr_spill_count: 2
    .wavefront_size: 64
  - .agpr_count:     0
    .args:
      - .offset:         0
        .size:           48
        .value_kind:     by_value
      - .offset:         48
        .size:           48
        .value_kind:     by_value
      - .offset:         96
        .size:           48
        .value_kind:     by_value
      - .offset:         144
        .size:           4
        .value_kind:     by_value
      - .offset:         148
        .size:           4
        .value_kind:     by_value
      - .offset:         152
        .size:           4
        .value_kind:     by_value
      - .offset:         156
        .size:           4
        .value_kind:     by_value
      - .offset:         160
        .size:           4
        .value_kind:     by_value
      - .offset:         164
        .size:           4
        .value_kind:     by_value
      - .offset:         168
        .size:           4
        .value_kind:     by_value
      - .offset:         172
        .size:           4
        .value_kind:     by_value
      - .offset:         176
        .size:           4
        .value_kind:     by_value
      - .offset:         184
        .size:           4
        .value_kind:     hidden_block_count_x
      - .offset:         188
        .size:           4
        .value_kind:     hidden_block_count_y
      - .offset:         192
        .size:           4
        .value_kind:     hidden_block_count_z
      - .offset:         196
        .size:           2
        .value_kind:     hidden_group_size_x
      - .offset:         198
        .size:           2
        .value_kind:     hidden_group_size_y
      - .offset:         200
        .size:           2
        .value_kind:     hidden_group_size_z
      - .offset:         202
        .size:           2
        .value_kind:     hidden_remainder_x
      - .offset:         204
        .size:           2
        .value_kind:     hidden_remainder_y
      - .offset:         206
        .size:           2
        .value_kind:     hidden_remainder_z
      - .offset:         224
        .size:           8
        .value_kind:     hidden_global_offset_x
      - .offset:         232
        .size:           8
        .value_kind:     hidden_global_offset_y
      - .offset:         240
        .size:           8
        .value_kind:     hidden_global_offset_z
      - .offset:         248
        .size:           2
        .value_kind:     hidden_grid_dims
    .group_segment_fixed_size: 0
    .kernarg_segment_align: 8
    .kernarg_segment_size: 440
    .language:       OpenCL C
    .language_version:
      - 2
      - 0
    .max_flat_workgroup_size: 1024
    .name:           _ZN2at6native12_GLOBAL__N_143conv_depthwise3d_cuda_backward_input_kernelIffLi3ELi3ELi3ELi1ELi1ELi1ELin1ELin1ELin1EEEvN5torch10headeronly6detail27GenericPackedTensorAccessorINS5_14TensorAccessorIN3c108ArrayRefIlEEKT_Lm4ENS4_16DefaultPtrTraitsEiEENS_6detail16IndexBoundsCheckILm5EiEESC_Lm5ESD_iEENS6_INS7_ISA_SB_Lm4ESD_iEESH_SB_Lm5ESD_iEESI_iiiiiiiii
    .private_segment_fixed_size: 28
    .sgpr_count:     106
    .sgpr_spill_count: 65
    .symbol:         _ZN2at6native12_GLOBAL__N_143conv_depthwise3d_cuda_backward_input_kernelIffLi3ELi3ELi3ELi1ELi1ELi1ELin1ELin1ELin1EEEvN5torch10headeronly6detail27GenericPackedTensorAccessorINS5_14TensorAccessorIN3c108ArrayRefIlEEKT_Lm4ENS4_16DefaultPtrTraitsEiEENS_6detail16IndexBoundsCheckILm5EiEESC_Lm5ESD_iEENS6_INS7_ISA_SB_Lm4ESD_iEESH_SB_Lm5ESD_iEESI_iiiiiiiii.kd
    .uniform_work_group_size: 1
    .uses_dynamic_stack: false
    .vgpr_count:     128
    .vgpr_spill_count: 6
    .wavefront_size: 64
  - .agpr_count:     0
    .args:
      - .offset:         0
        .size:           48
        .value_kind:     by_value
      - .offset:         48
        .size:           48
        .value_kind:     by_value
      - .offset:         96
        .size:           48
        .value_kind:     by_value
      - .offset:         144
        .size:           4
        .value_kind:     by_value
      - .offset:         148
        .size:           4
        .value_kind:     by_value
      - .offset:         152
        .size:           4
        .value_kind:     by_value
      - .offset:         156
        .size:           4
        .value_kind:     by_value
      - .offset:         160
        .size:           4
        .value_kind:     by_value
      - .offset:         164
        .size:           4
        .value_kind:     by_value
      - .offset:         168
        .size:           4
        .value_kind:     by_value
      - .offset:         172
        .size:           4
        .value_kind:     by_value
      - .offset:         176
        .size:           4
        .value_kind:     by_value
      - .offset:         184
        .size:           4
        .value_kind:     hidden_block_count_x
      - .offset:         188
        .size:           4
        .value_kind:     hidden_block_count_y
      - .offset:         192
        .size:           4
        .value_kind:     hidden_block_count_z
      - .offset:         196
        .size:           2
        .value_kind:     hidden_group_size_x
      - .offset:         198
        .size:           2
        .value_kind:     hidden_group_size_y
      - .offset:         200
        .size:           2
        .value_kind:     hidden_group_size_z
      - .offset:         202
        .size:           2
        .value_kind:     hidden_remainder_x
      - .offset:         204
        .size:           2
        .value_kind:     hidden_remainder_y
      - .offset:         206
        .size:           2
        .value_kind:     hidden_remainder_z
      - .offset:         224
        .size:           8
        .value_kind:     hidden_global_offset_x
      - .offset:         232
        .size:           8
        .value_kind:     hidden_global_offset_y
      - .offset:         240
        .size:           8
        .value_kind:     hidden_global_offset_z
      - .offset:         248
        .size:           2
        .value_kind:     hidden_grid_dims
    .group_segment_fixed_size: 0
    .kernarg_segment_align: 8
    .kernarg_segment_size: 440
    .language:       OpenCL C
    .language_version:
      - 2
      - 0
    .max_flat_workgroup_size: 1024
    .name:           _ZN2at6native12_GLOBAL__N_143conv_depthwise3d_cuda_backward_input_kernelIffLi3ELi3ELi3ELin1ELin1ELin1ELi1ELi1ELi1EEEvN5torch10headeronly6detail27GenericPackedTensorAccessorINS5_14TensorAccessorIN3c108ArrayRefIlEEKT_Lm4ENS4_16DefaultPtrTraitsEiEENS_6detail16IndexBoundsCheckILm5EiEESC_Lm5ESD_iEENS6_INS7_ISA_SB_Lm4ESD_iEESH_SB_Lm5ESD_iEESI_iiiiiiiii
    .private_segment_fixed_size: 12
    .sgpr_count:     106
    .sgpr_spill_count: 6
    .symbol:         _ZN2at6native12_GLOBAL__N_143conv_depthwise3d_cuda_backward_input_kernelIffLi3ELi3ELi3ELin1ELin1ELin1ELi1ELi1ELi1EEEvN5torch10headeronly6detail27GenericPackedTensorAccessorINS5_14TensorAccessorIN3c108ArrayRefIlEEKT_Lm4ENS4_16DefaultPtrTraitsEiEENS_6detail16IndexBoundsCheckILm5EiEESC_Lm5ESD_iEENS6_INS7_ISA_SB_Lm4ESD_iEESH_SB_Lm5ESD_iEESI_iiiiiiiii.kd
    .uniform_work_group_size: 1
    .uses_dynamic_stack: false
    .vgpr_count:     128
    .vgpr_spill_count: 2
    .wavefront_size: 64
  - .agpr_count:     0
    .args:
      - .offset:         0
        .size:           48
        .value_kind:     by_value
      - .offset:         48
        .size:           48
        .value_kind:     by_value
      - .offset:         96
        .size:           48
        .value_kind:     by_value
      - .offset:         144
        .size:           4
        .value_kind:     by_value
      - .offset:         148
        .size:           4
        .value_kind:     by_value
      - .offset:         152
        .size:           4
        .value_kind:     by_value
      - .offset:         156
        .size:           4
        .value_kind:     by_value
      - .offset:         160
        .size:           4
        .value_kind:     by_value
      - .offset:         164
        .size:           4
        .value_kind:     by_value
      - .offset:         168
        .size:           4
        .value_kind:     by_value
      - .offset:         172
        .size:           4
        .value_kind:     by_value
      - .offset:         176
        .size:           4
        .value_kind:     by_value
      - .offset:         184
        .size:           4
        .value_kind:     hidden_block_count_x
      - .offset:         188
        .size:           4
        .value_kind:     hidden_block_count_y
      - .offset:         192
        .size:           4
        .value_kind:     hidden_block_count_z
      - .offset:         196
        .size:           2
        .value_kind:     hidden_group_size_x
      - .offset:         198
        .size:           2
        .value_kind:     hidden_group_size_y
      - .offset:         200
        .size:           2
        .value_kind:     hidden_group_size_z
      - .offset:         202
        .size:           2
        .value_kind:     hidden_remainder_x
      - .offset:         204
        .size:           2
        .value_kind:     hidden_remainder_y
      - .offset:         206
        .size:           2
        .value_kind:     hidden_remainder_z
      - .offset:         224
        .size:           8
        .value_kind:     hidden_global_offset_x
      - .offset:         232
        .size:           8
        .value_kind:     hidden_global_offset_y
      - .offset:         240
        .size:           8
        .value_kind:     hidden_global_offset_z
      - .offset:         248
        .size:           2
        .value_kind:     hidden_grid_dims
    .group_segment_fixed_size: 0
    .kernarg_segment_align: 8
    .kernarg_segment_size: 440
    .language:       OpenCL C
    .language_version:
      - 2
      - 0
    .max_flat_workgroup_size: 1024
    .name:           _ZN2at6native12_GLOBAL__N_143conv_depthwise3d_cuda_backward_input_kernelIffLi3ELi3ELi3ELin1ELin1ELin1ELin1ELin1ELin1EEEvN5torch10headeronly6detail27GenericPackedTensorAccessorINS5_14TensorAccessorIN3c108ArrayRefIlEEKT_Lm4ENS4_16DefaultPtrTraitsEiEENS_6detail16IndexBoundsCheckILm5EiEESC_Lm5ESD_iEENS6_INS7_ISA_SB_Lm4ESD_iEESH_SB_Lm5ESD_iEESI_iiiiiiiii
    .private_segment_fixed_size: 28
    .sgpr_count:     106
    .sgpr_spill_count: 71
    .symbol:         _ZN2at6native12_GLOBAL__N_143conv_depthwise3d_cuda_backward_input_kernelIffLi3ELi3ELi3ELin1ELin1ELin1ELin1ELin1ELin1EEEvN5torch10headeronly6detail27GenericPackedTensorAccessorINS5_14TensorAccessorIN3c108ArrayRefIlEEKT_Lm4ENS4_16DefaultPtrTraitsEiEENS_6detail16IndexBoundsCheckILm5EiEESC_Lm5ESD_iEENS6_INS7_ISA_SB_Lm4ESD_iEESH_SB_Lm5ESD_iEESI_iiiiiiiii.kd
    .uniform_work_group_size: 1
    .uses_dynamic_stack: false
    .vgpr_count:     128
    .vgpr_spill_count: 6
    .wavefront_size: 64
  - .agpr_count:     0
    .args:
      - .offset:         0
        .size:           48
        .value_kind:     by_value
      - .offset:         48
        .size:           48
        .value_kind:     by_value
      - .offset:         96
        .size:           48
        .value_kind:     by_value
      - .offset:         144
        .size:           4
        .value_kind:     by_value
      - .offset:         148
        .size:           4
        .value_kind:     by_value
      - .offset:         152
        .size:           4
        .value_kind:     by_value
      - .offset:         156
        .size:           4
        .value_kind:     by_value
      - .offset:         160
        .size:           4
        .value_kind:     by_value
      - .offset:         164
        .size:           4
        .value_kind:     by_value
      - .offset:         168
        .size:           4
        .value_kind:     by_value
      - .offset:         172
        .size:           4
        .value_kind:     by_value
      - .offset:         176
        .size:           4
        .value_kind:     by_value
      - .offset:         184
        .size:           4
        .value_kind:     hidden_block_count_x
      - .offset:         188
        .size:           4
        .value_kind:     hidden_block_count_y
      - .offset:         192
        .size:           4
        .value_kind:     hidden_block_count_z
      - .offset:         196
        .size:           2
        .value_kind:     hidden_group_size_x
      - .offset:         198
        .size:           2
        .value_kind:     hidden_group_size_y
      - .offset:         200
        .size:           2
        .value_kind:     hidden_group_size_z
      - .offset:         202
        .size:           2
        .value_kind:     hidden_remainder_x
      - .offset:         204
        .size:           2
        .value_kind:     hidden_remainder_y
      - .offset:         206
        .size:           2
        .value_kind:     hidden_remainder_z
      - .offset:         224
        .size:           8
        .value_kind:     hidden_global_offset_x
      - .offset:         232
        .size:           8
        .value_kind:     hidden_global_offset_y
      - .offset:         240
        .size:           8
        .value_kind:     hidden_global_offset_z
      - .offset:         248
        .size:           2
        .value_kind:     hidden_grid_dims
    .group_segment_fixed_size: 0
    .kernarg_segment_align: 8
    .kernarg_segment_size: 440
    .language:       OpenCL C
    .language_version:
      - 2
      - 0
    .max_flat_workgroup_size: 1024
    .name:           _ZN2at6native12_GLOBAL__N_143conv_depthwise3d_cuda_backward_input_kernelIffLin1ELin1ELin1ELin1ELin1ELin1ELin1ELin1ELin1EEEvN5torch10headeronly6detail27GenericPackedTensorAccessorINS5_14TensorAccessorIN3c108ArrayRefIlEEKT_Lm4ENS4_16DefaultPtrTraitsEiEENS_6detail16IndexBoundsCheckILm5EiEESC_Lm5ESD_iEENS6_INS7_ISA_SB_Lm4ESD_iEESH_SB_Lm5ESD_iEESI_iiiiiiiii
    .private_segment_fixed_size: 0
    .sgpr_count:     88
    .sgpr_spill_count: 0
    .symbol:         _ZN2at6native12_GLOBAL__N_143conv_depthwise3d_cuda_backward_input_kernelIffLin1ELin1ELin1ELin1ELin1ELin1ELin1ELin1ELin1EEEvN5torch10headeronly6detail27GenericPackedTensorAccessorINS5_14TensorAccessorIN3c108ArrayRefIlEEKT_Lm4ENS4_16DefaultPtrTraitsEiEENS_6detail16IndexBoundsCheckILm5EiEESC_Lm5ESD_iEENS6_INS7_ISA_SB_Lm4ESD_iEESH_SB_Lm5ESD_iEESI_iiiiiiiii.kd
    .uniform_work_group_size: 1
    .uses_dynamic_stack: false
    .vgpr_count:     34
    .vgpr_spill_count: 0
    .wavefront_size: 64
  - .agpr_count:     0
    .args:
      - .offset:         0
        .size:           48
        .value_kind:     by_value
      - .offset:         48
        .size:           48
        .value_kind:     by_value
      - .offset:         96
        .size:           48
        .value_kind:     by_value
      - .offset:         144
        .size:           4
        .value_kind:     by_value
      - .offset:         148
        .size:           4
        .value_kind:     by_value
      - .offset:         152
        .size:           4
        .value_kind:     by_value
      - .offset:         156
        .size:           4
        .value_kind:     by_value
      - .offset:         160
        .size:           4
        .value_kind:     by_value
      - .offset:         164
        .size:           4
        .value_kind:     by_value
      - .offset:         168
        .size:           4
        .value_kind:     by_value
      - .offset:         172
        .size:           4
        .value_kind:     by_value
      - .offset:         176
        .size:           4
        .value_kind:     by_value
      - .offset:         184
        .size:           4
        .value_kind:     hidden_block_count_x
      - .offset:         188
        .size:           4
        .value_kind:     hidden_block_count_y
      - .offset:         192
        .size:           4
        .value_kind:     hidden_block_count_z
      - .offset:         196
        .size:           2
        .value_kind:     hidden_group_size_x
      - .offset:         198
        .size:           2
        .value_kind:     hidden_group_size_y
      - .offset:         200
        .size:           2
        .value_kind:     hidden_group_size_z
      - .offset:         202
        .size:           2
        .value_kind:     hidden_remainder_x
      - .offset:         204
        .size:           2
        .value_kind:     hidden_remainder_y
      - .offset:         206
        .size:           2
        .value_kind:     hidden_remainder_z
      - .offset:         224
        .size:           8
        .value_kind:     hidden_global_offset_x
      - .offset:         232
        .size:           8
        .value_kind:     hidden_global_offset_y
      - .offset:         240
        .size:           8
        .value_kind:     hidden_global_offset_z
      - .offset:         248
        .size:           2
        .value_kind:     hidden_grid_dims
    .group_segment_fixed_size: 0
    .kernarg_segment_align: 8
    .kernarg_segment_size: 440
    .language:       OpenCL C
    .language_version:
      - 2
      - 0
    .max_flat_workgroup_size: 1024
    .name:           _ZN2at6native12_GLOBAL__N_143conv_depthwise3d_cuda_backward_input_kernelIN3c104HalfEfLi3ELi3ELi3ELi1ELi1ELi1ELi1ELi1ELi1EEEvN5torch10headeronly6detail27GenericPackedTensorAccessorINS7_14TensorAccessorINS3_8ArrayRefIlEEKT_Lm4ENS6_16DefaultPtrTraitsEiEENS_6detail16IndexBoundsCheckILm5EiEESD_Lm5ESE_iEENS8_INS9_ISB_SC_Lm4ESE_iEESI_SC_Lm5ESE_iEESJ_iiiiiiiii
    .private_segment_fixed_size: 12
    .sgpr_count:     106
    .sgpr_spill_count: 2
    .symbol:         _ZN2at6native12_GLOBAL__N_143conv_depthwise3d_cuda_backward_input_kernelIN3c104HalfEfLi3ELi3ELi3ELi1ELi1ELi1ELi1ELi1ELi1EEEvN5torch10headeronly6detail27GenericPackedTensorAccessorINS7_14TensorAccessorINS3_8ArrayRefIlEEKT_Lm4ENS6_16DefaultPtrTraitsEiEENS_6detail16IndexBoundsCheckILm5EiEESD_Lm5ESE_iEENS8_INS9_ISB_SC_Lm4ESE_iEESI_SC_Lm5ESE_iEESJ_iiiiiiiii.kd
    .uniform_work_group_size: 1
    .uses_dynamic_stack: false
    .vgpr_count:     128
    .vgpr_spill_count: 2
    .wavefront_size: 64
  - .agpr_count:     0
    .args:
      - .offset:         0
        .size:           48
        .value_kind:     by_value
      - .offset:         48
        .size:           48
        .value_kind:     by_value
      - .offset:         96
        .size:           48
        .value_kind:     by_value
      - .offset:         144
        .size:           4
        .value_kind:     by_value
      - .offset:         148
        .size:           4
        .value_kind:     by_value
      - .offset:         152
        .size:           4
        .value_kind:     by_value
      - .offset:         156
        .size:           4
        .value_kind:     by_value
      - .offset:         160
        .size:           4
        .value_kind:     by_value
      - .offset:         164
        .size:           4
        .value_kind:     by_value
      - .offset:         168
        .size:           4
        .value_kind:     by_value
      - .offset:         172
        .size:           4
        .value_kind:     by_value
      - .offset:         176
        .size:           4
        .value_kind:     by_value
      - .offset:         184
        .size:           4
        .value_kind:     hidden_block_count_x
      - .offset:         188
        .size:           4
        .value_kind:     hidden_block_count_y
      - .offset:         192
        .size:           4
        .value_kind:     hidden_block_count_z
      - .offset:         196
        .size:           2
        .value_kind:     hidden_group_size_x
      - .offset:         198
        .size:           2
        .value_kind:     hidden_group_size_y
      - .offset:         200
        .size:           2
        .value_kind:     hidden_group_size_z
      - .offset:         202
        .size:           2
        .value_kind:     hidden_remainder_x
      - .offset:         204
        .size:           2
        .value_kind:     hidden_remainder_y
      - .offset:         206
        .size:           2
        .value_kind:     hidden_remainder_z
      - .offset:         224
        .size:           8
        .value_kind:     hidden_global_offset_x
      - .offset:         232
        .size:           8
        .value_kind:     hidden_global_offset_y
      - .offset:         240
        .size:           8
        .value_kind:     hidden_global_offset_z
      - .offset:         248
        .size:           2
        .value_kind:     hidden_grid_dims
    .group_segment_fixed_size: 0
    .kernarg_segment_align: 8
    .kernarg_segment_size: 440
    .language:       OpenCL C
    .language_version:
      - 2
      - 0
    .max_flat_workgroup_size: 1024
    .name:           _ZN2at6native12_GLOBAL__N_143conv_depthwise3d_cuda_backward_input_kernelIN3c104HalfEfLi3ELi3ELi3ELi1ELi1ELi1ELin1ELin1ELin1EEEvN5torch10headeronly6detail27GenericPackedTensorAccessorINS7_14TensorAccessorINS3_8ArrayRefIlEEKT_Lm4ENS6_16DefaultPtrTraitsEiEENS_6detail16IndexBoundsCheckILm5EiEESD_Lm5ESE_iEENS8_INS9_ISB_SC_Lm4ESE_iEESI_SC_Lm5ESE_iEESJ_iiiiiiiii
    .private_segment_fixed_size: 28
    .sgpr_count:     106
    .sgpr_spill_count: 65
    .symbol:         _ZN2at6native12_GLOBAL__N_143conv_depthwise3d_cuda_backward_input_kernelIN3c104HalfEfLi3ELi3ELi3ELi1ELi1ELi1ELin1ELin1ELin1EEEvN5torch10headeronly6detail27GenericPackedTensorAccessorINS7_14TensorAccessorINS3_8ArrayRefIlEEKT_Lm4ENS6_16DefaultPtrTraitsEiEENS_6detail16IndexBoundsCheckILm5EiEESD_Lm5ESE_iEENS8_INS9_ISB_SC_Lm4ESE_iEESI_SC_Lm5ESE_iEESJ_iiiiiiiii.kd
    .uniform_work_group_size: 1
    .uses_dynamic_stack: false
    .vgpr_count:     128
    .vgpr_spill_count: 6
    .wavefront_size: 64
  - .agpr_count:     0
    .args:
      - .offset:         0
        .size:           48
        .value_kind:     by_value
      - .offset:         48
        .size:           48
        .value_kind:     by_value
      - .offset:         96
        .size:           48
        .value_kind:     by_value
      - .offset:         144
        .size:           4
        .value_kind:     by_value
      - .offset:         148
        .size:           4
        .value_kind:     by_value
      - .offset:         152
        .size:           4
        .value_kind:     by_value
      - .offset:         156
        .size:           4
        .value_kind:     by_value
      - .offset:         160
        .size:           4
        .value_kind:     by_value
      - .offset:         164
        .size:           4
        .value_kind:     by_value
      - .offset:         168
        .size:           4
        .value_kind:     by_value
      - .offset:         172
        .size:           4
        .value_kind:     by_value
      - .offset:         176
        .size:           4
        .value_kind:     by_value
      - .offset:         184
        .size:           4
        .value_kind:     hidden_block_count_x
      - .offset:         188
        .size:           4
        .value_kind:     hidden_block_count_y
      - .offset:         192
        .size:           4
        .value_kind:     hidden_block_count_z
      - .offset:         196
        .size:           2
        .value_kind:     hidden_group_size_x
      - .offset:         198
        .size:           2
        .value_kind:     hidden_group_size_y
      - .offset:         200
        .size:           2
        .value_kind:     hidden_group_size_z
      - .offset:         202
        .size:           2
        .value_kind:     hidden_remainder_x
      - .offset:         204
        .size:           2
        .value_kind:     hidden_remainder_y
      - .offset:         206
        .size:           2
        .value_kind:     hidden_remainder_z
      - .offset:         224
        .size:           8
        .value_kind:     hidden_global_offset_x
      - .offset:         232
        .size:           8
        .value_kind:     hidden_global_offset_y
      - .offset:         240
        .size:           8
        .value_kind:     hidden_global_offset_z
      - .offset:         248
        .size:           2
        .value_kind:     hidden_grid_dims
    .group_segment_fixed_size: 0
    .kernarg_segment_align: 8
    .kernarg_segment_size: 440
    .language:       OpenCL C
    .language_version:
      - 2
      - 0
    .max_flat_workgroup_size: 1024
    .name:           _ZN2at6native12_GLOBAL__N_143conv_depthwise3d_cuda_backward_input_kernelIN3c104HalfEfLi3ELi3ELi3ELin1ELin1ELin1ELi1ELi1ELi1EEEvN5torch10headeronly6detail27GenericPackedTensorAccessorINS7_14TensorAccessorINS3_8ArrayRefIlEEKT_Lm4ENS6_16DefaultPtrTraitsEiEENS_6detail16IndexBoundsCheckILm5EiEESD_Lm5ESE_iEENS8_INS9_ISB_SC_Lm4ESE_iEESI_SC_Lm5ESE_iEESJ_iiiiiiiii
    .private_segment_fixed_size: 12
    .sgpr_count:     106
    .sgpr_spill_count: 6
    .symbol:         _ZN2at6native12_GLOBAL__N_143conv_depthwise3d_cuda_backward_input_kernelIN3c104HalfEfLi3ELi3ELi3ELin1ELin1ELin1ELi1ELi1ELi1EEEvN5torch10headeronly6detail27GenericPackedTensorAccessorINS7_14TensorAccessorINS3_8ArrayRefIlEEKT_Lm4ENS6_16DefaultPtrTraitsEiEENS_6detail16IndexBoundsCheckILm5EiEESD_Lm5ESE_iEENS8_INS9_ISB_SC_Lm4ESE_iEESI_SC_Lm5ESE_iEESJ_iiiiiiiii.kd
    .uniform_work_group_size: 1
    .uses_dynamic_stack: false
    .vgpr_count:     128
    .vgpr_spill_count: 2
    .wavefront_size: 64
  - .agpr_count:     0
    .args:
      - .offset:         0
        .size:           48
        .value_kind:     by_value
      - .offset:         48
        .size:           48
        .value_kind:     by_value
      - .offset:         96
        .size:           48
        .value_kind:     by_value
      - .offset:         144
        .size:           4
        .value_kind:     by_value
      - .offset:         148
        .size:           4
        .value_kind:     by_value
      - .offset:         152
        .size:           4
        .value_kind:     by_value
      - .offset:         156
        .size:           4
        .value_kind:     by_value
      - .offset:         160
        .size:           4
        .value_kind:     by_value
      - .offset:         164
        .size:           4
        .value_kind:     by_value
      - .offset:         168
        .size:           4
        .value_kind:     by_value
      - .offset:         172
        .size:           4
        .value_kind:     by_value
      - .offset:         176
        .size:           4
        .value_kind:     by_value
      - .offset:         184
        .size:           4
        .value_kind:     hidden_block_count_x
      - .offset:         188
        .size:           4
        .value_kind:     hidden_block_count_y
      - .offset:         192
        .size:           4
        .value_kind:     hidden_block_count_z
      - .offset:         196
        .size:           2
        .value_kind:     hidden_group_size_x
      - .offset:         198
        .size:           2
        .value_kind:     hidden_group_size_y
      - .offset:         200
        .size:           2
        .value_kind:     hidden_group_size_z
      - .offset:         202
        .size:           2
        .value_kind:     hidden_remainder_x
      - .offset:         204
        .size:           2
        .value_kind:     hidden_remainder_y
      - .offset:         206
        .size:           2
        .value_kind:     hidden_remainder_z
      - .offset:         224
        .size:           8
        .value_kind:     hidden_global_offset_x
      - .offset:         232
        .size:           8
        .value_kind:     hidden_global_offset_y
      - .offset:         240
        .size:           8
        .value_kind:     hidden_global_offset_z
      - .offset:         248
        .size:           2
        .value_kind:     hidden_grid_dims
    .group_segment_fixed_size: 0
    .kernarg_segment_align: 8
    .kernarg_segment_size: 440
    .language:       OpenCL C
    .language_version:
      - 2
      - 0
    .max_flat_workgroup_size: 1024
    .name:           _ZN2at6native12_GLOBAL__N_143conv_depthwise3d_cuda_backward_input_kernelIN3c104HalfEfLi3ELi3ELi3ELin1ELin1ELin1ELin1ELin1ELin1EEEvN5torch10headeronly6detail27GenericPackedTensorAccessorINS7_14TensorAccessorINS3_8ArrayRefIlEEKT_Lm4ENS6_16DefaultPtrTraitsEiEENS_6detail16IndexBoundsCheckILm5EiEESD_Lm5ESE_iEENS8_INS9_ISB_SC_Lm4ESE_iEESI_SC_Lm5ESE_iEESJ_iiiiiiiii
    .private_segment_fixed_size: 28
    .sgpr_count:     106
    .sgpr_spill_count: 71
    .symbol:         _ZN2at6native12_GLOBAL__N_143conv_depthwise3d_cuda_backward_input_kernelIN3c104HalfEfLi3ELi3ELi3ELin1ELin1ELin1ELin1ELin1ELin1EEEvN5torch10headeronly6detail27GenericPackedTensorAccessorINS7_14TensorAccessorINS3_8ArrayRefIlEEKT_Lm4ENS6_16DefaultPtrTraitsEiEENS_6detail16IndexBoundsCheckILm5EiEESD_Lm5ESE_iEENS8_INS9_ISB_SC_Lm4ESE_iEESI_SC_Lm5ESE_iEESJ_iiiiiiiii.kd
    .uniform_work_group_size: 1
    .uses_dynamic_stack: false
    .vgpr_count:     128
    .vgpr_spill_count: 6
    .wavefront_size: 64
  - .agpr_count:     0
    .args:
      - .offset:         0
        .size:           48
        .value_kind:     by_value
      - .offset:         48
        .size:           48
        .value_kind:     by_value
      - .offset:         96
        .size:           48
        .value_kind:     by_value
      - .offset:         144
        .size:           4
        .value_kind:     by_value
      - .offset:         148
        .size:           4
        .value_kind:     by_value
      - .offset:         152
        .size:           4
        .value_kind:     by_value
      - .offset:         156
        .size:           4
        .value_kind:     by_value
      - .offset:         160
        .size:           4
        .value_kind:     by_value
      - .offset:         164
        .size:           4
        .value_kind:     by_value
      - .offset:         168
        .size:           4
        .value_kind:     by_value
      - .offset:         172
        .size:           4
        .value_kind:     by_value
      - .offset:         176
        .size:           4
        .value_kind:     by_value
      - .offset:         184
        .size:           4
        .value_kind:     hidden_block_count_x
      - .offset:         188
        .size:           4
        .value_kind:     hidden_block_count_y
      - .offset:         192
        .size:           4
        .value_kind:     hidden_block_count_z
      - .offset:         196
        .size:           2
        .value_kind:     hidden_group_size_x
      - .offset:         198
        .size:           2
        .value_kind:     hidden_group_size_y
      - .offset:         200
        .size:           2
        .value_kind:     hidden_group_size_z
      - .offset:         202
        .size:           2
        .value_kind:     hidden_remainder_x
      - .offset:         204
        .size:           2
        .value_kind:     hidden_remainder_y
      - .offset:         206
        .size:           2
        .value_kind:     hidden_remainder_z
      - .offset:         224
        .size:           8
        .value_kind:     hidden_global_offset_x
      - .offset:         232
        .size:           8
        .value_kind:     hidden_global_offset_y
      - .offset:         240
        .size:           8
        .value_kind:     hidden_global_offset_z
      - .offset:         248
        .size:           2
        .value_kind:     hidden_grid_dims
    .group_segment_fixed_size: 0
    .kernarg_segment_align: 8
    .kernarg_segment_size: 440
    .language:       OpenCL C
    .language_version:
      - 2
      - 0
    .max_flat_workgroup_size: 1024
    .name:           _ZN2at6native12_GLOBAL__N_143conv_depthwise3d_cuda_backward_input_kernelIN3c104HalfEfLin1ELin1ELin1ELin1ELin1ELin1ELin1ELin1ELin1EEEvN5torch10headeronly6detail27GenericPackedTensorAccessorINS7_14TensorAccessorINS3_8ArrayRefIlEEKT_Lm4ENS6_16DefaultPtrTraitsEiEENS_6detail16IndexBoundsCheckILm5EiEESD_Lm5ESE_iEENS8_INS9_ISB_SC_Lm4ESE_iEESI_SC_Lm5ESE_iEESJ_iiiiiiiii
    .private_segment_fixed_size: 0
    .sgpr_count:     88
    .sgpr_spill_count: 0
    .symbol:         _ZN2at6native12_GLOBAL__N_143conv_depthwise3d_cuda_backward_input_kernelIN3c104HalfEfLin1ELin1ELin1ELin1ELin1ELin1ELin1ELin1ELin1EEEvN5torch10headeronly6detail27GenericPackedTensorAccessorINS7_14TensorAccessorINS3_8ArrayRefIlEEKT_Lm4ENS6_16DefaultPtrTraitsEiEENS_6detail16IndexBoundsCheckILm5EiEESD_Lm5ESE_iEENS8_INS9_ISB_SC_Lm4ESE_iEESI_SC_Lm5ESE_iEESJ_iiiiiiiii.kd
    .uniform_work_group_size: 1
    .uses_dynamic_stack: false
    .vgpr_count:     34
    .vgpr_spill_count: 0
    .wavefront_size: 64
  - .agpr_count:     0
    .args:
      - .offset:         0
        .size:           48
        .value_kind:     by_value
      - .offset:         48
        .size:           48
        .value_kind:     by_value
      - .offset:         96
        .size:           48
        .value_kind:     by_value
      - .offset:         144
        .size:           4
        .value_kind:     by_value
      - .offset:         148
        .size:           4
        .value_kind:     by_value
      - .offset:         152
        .size:           4
        .value_kind:     by_value
      - .offset:         156
        .size:           4
        .value_kind:     by_value
      - .offset:         160
        .size:           4
        .value_kind:     by_value
      - .offset:         164
        .size:           4
        .value_kind:     by_value
      - .offset:         168
        .size:           4
        .value_kind:     by_value
      - .offset:         172
        .size:           4
        .value_kind:     by_value
      - .offset:         176
        .size:           4
        .value_kind:     by_value
      - .offset:         184
        .size:           4
        .value_kind:     hidden_block_count_x
      - .offset:         188
        .size:           4
        .value_kind:     hidden_block_count_y
      - .offset:         192
        .size:           4
        .value_kind:     hidden_block_count_z
      - .offset:         196
        .size:           2
        .value_kind:     hidden_group_size_x
      - .offset:         198
        .size:           2
        .value_kind:     hidden_group_size_y
      - .offset:         200
        .size:           2
        .value_kind:     hidden_group_size_z
      - .offset:         202
        .size:           2
        .value_kind:     hidden_remainder_x
      - .offset:         204
        .size:           2
        .value_kind:     hidden_remainder_y
      - .offset:         206
        .size:           2
        .value_kind:     hidden_remainder_z
      - .offset:         224
        .size:           8
        .value_kind:     hidden_global_offset_x
      - .offset:         232
        .size:           8
        .value_kind:     hidden_global_offset_y
      - .offset:         240
        .size:           8
        .value_kind:     hidden_global_offset_z
      - .offset:         248
        .size:           2
        .value_kind:     hidden_grid_dims
    .group_segment_fixed_size: 0
    .kernarg_segment_align: 8
    .kernarg_segment_size: 440
    .language:       OpenCL C
    .language_version:
      - 2
      - 0
    .max_flat_workgroup_size: 1024
    .name:           _ZN2at6native12_GLOBAL__N_143conv_depthwise3d_cuda_backward_input_kernelIN3c108BFloat16EfLi3ELi3ELi3ELi1ELi1ELi1ELi1ELi1ELi1EEEvN5torch10headeronly6detail27GenericPackedTensorAccessorINS7_14TensorAccessorINS3_8ArrayRefIlEEKT_Lm4ENS6_16DefaultPtrTraitsEiEENS_6detail16IndexBoundsCheckILm5EiEESD_Lm5ESE_iEENS8_INS9_ISB_SC_Lm4ESE_iEESI_SC_Lm5ESE_iEESJ_iiiiiiiii
    .private_segment_fixed_size: 12
    .sgpr_count:     106
    .sgpr_spill_count: 2
    .symbol:         _ZN2at6native12_GLOBAL__N_143conv_depthwise3d_cuda_backward_input_kernelIN3c108BFloat16EfLi3ELi3ELi3ELi1ELi1ELi1ELi1ELi1ELi1EEEvN5torch10headeronly6detail27GenericPackedTensorAccessorINS7_14TensorAccessorINS3_8ArrayRefIlEEKT_Lm4ENS6_16DefaultPtrTraitsEiEENS_6detail16IndexBoundsCheckILm5EiEESD_Lm5ESE_iEENS8_INS9_ISB_SC_Lm4ESE_iEESI_SC_Lm5ESE_iEESJ_iiiiiiiii.kd
    .uniform_work_group_size: 1
    .uses_dynamic_stack: false
    .vgpr_count:     128
    .vgpr_spill_count: 2
    .wavefront_size: 64
  - .agpr_count:     0
    .args:
      - .offset:         0
        .size:           48
        .value_kind:     by_value
      - .offset:         48
        .size:           48
        .value_kind:     by_value
      - .offset:         96
        .size:           48
        .value_kind:     by_value
      - .offset:         144
        .size:           4
        .value_kind:     by_value
      - .offset:         148
        .size:           4
        .value_kind:     by_value
      - .offset:         152
        .size:           4
        .value_kind:     by_value
      - .offset:         156
        .size:           4
        .value_kind:     by_value
      - .offset:         160
        .size:           4
        .value_kind:     by_value
      - .offset:         164
        .size:           4
        .value_kind:     by_value
      - .offset:         168
        .size:           4
        .value_kind:     by_value
      - .offset:         172
        .size:           4
        .value_kind:     by_value
      - .offset:         176
        .size:           4
        .value_kind:     by_value
      - .offset:         184
        .size:           4
        .value_kind:     hidden_block_count_x
      - .offset:         188
        .size:           4
        .value_kind:     hidden_block_count_y
      - .offset:         192
        .size:           4
        .value_kind:     hidden_block_count_z
      - .offset:         196
        .size:           2
        .value_kind:     hidden_group_size_x
      - .offset:         198
        .size:           2
        .value_kind:     hidden_group_size_y
      - .offset:         200
        .size:           2
        .value_kind:     hidden_group_size_z
      - .offset:         202
        .size:           2
        .value_kind:     hidden_remainder_x
      - .offset:         204
        .size:           2
        .value_kind:     hidden_remainder_y
      - .offset:         206
        .size:           2
        .value_kind:     hidden_remainder_z
      - .offset:         224
        .size:           8
        .value_kind:     hidden_global_offset_x
      - .offset:         232
        .size:           8
        .value_kind:     hidden_global_offset_y
      - .offset:         240
        .size:           8
        .value_kind:     hidden_global_offset_z
      - .offset:         248
        .size:           2
        .value_kind:     hidden_grid_dims
    .group_segment_fixed_size: 0
    .kernarg_segment_align: 8
    .kernarg_segment_size: 440
    .language:       OpenCL C
    .language_version:
      - 2
      - 0
    .max_flat_workgroup_size: 1024
    .name:           _ZN2at6native12_GLOBAL__N_143conv_depthwise3d_cuda_backward_input_kernelIN3c108BFloat16EfLi3ELi3ELi3ELi1ELi1ELi1ELin1ELin1ELin1EEEvN5torch10headeronly6detail27GenericPackedTensorAccessorINS7_14TensorAccessorINS3_8ArrayRefIlEEKT_Lm4ENS6_16DefaultPtrTraitsEiEENS_6detail16IndexBoundsCheckILm5EiEESD_Lm5ESE_iEENS8_INS9_ISB_SC_Lm4ESE_iEESI_SC_Lm5ESE_iEESJ_iiiiiiiii
    .private_segment_fixed_size: 28
    .sgpr_count:     106
    .sgpr_spill_count: 65
    .symbol:         _ZN2at6native12_GLOBAL__N_143conv_depthwise3d_cuda_backward_input_kernelIN3c108BFloat16EfLi3ELi3ELi3ELi1ELi1ELi1ELin1ELin1ELin1EEEvN5torch10headeronly6detail27GenericPackedTensorAccessorINS7_14TensorAccessorINS3_8ArrayRefIlEEKT_Lm4ENS6_16DefaultPtrTraitsEiEENS_6detail16IndexBoundsCheckILm5EiEESD_Lm5ESE_iEENS8_INS9_ISB_SC_Lm4ESE_iEESI_SC_Lm5ESE_iEESJ_iiiiiiiii.kd
    .uniform_work_group_size: 1
    .uses_dynamic_stack: false
    .vgpr_count:     128
    .vgpr_spill_count: 6
    .wavefront_size: 64
  - .agpr_count:     0
    .args:
      - .offset:         0
        .size:           48
        .value_kind:     by_value
      - .offset:         48
        .size:           48
        .value_kind:     by_value
      - .offset:         96
        .size:           48
        .value_kind:     by_value
      - .offset:         144
        .size:           4
        .value_kind:     by_value
      - .offset:         148
        .size:           4
        .value_kind:     by_value
      - .offset:         152
        .size:           4
        .value_kind:     by_value
      - .offset:         156
        .size:           4
        .value_kind:     by_value
      - .offset:         160
        .size:           4
        .value_kind:     by_value
      - .offset:         164
        .size:           4
        .value_kind:     by_value
      - .offset:         168
        .size:           4
        .value_kind:     by_value
      - .offset:         172
        .size:           4
        .value_kind:     by_value
      - .offset:         176
        .size:           4
        .value_kind:     by_value
      - .offset:         184
        .size:           4
        .value_kind:     hidden_block_count_x
      - .offset:         188
        .size:           4
        .value_kind:     hidden_block_count_y
      - .offset:         192
        .size:           4
        .value_kind:     hidden_block_count_z
      - .offset:         196
        .size:           2
        .value_kind:     hidden_group_size_x
      - .offset:         198
        .size:           2
        .value_kind:     hidden_group_size_y
      - .offset:         200
        .size:           2
        .value_kind:     hidden_group_size_z
      - .offset:         202
        .size:           2
        .value_kind:     hidden_remainder_x
      - .offset:         204
        .size:           2
        .value_kind:     hidden_remainder_y
      - .offset:         206
        .size:           2
        .value_kind:     hidden_remainder_z
      - .offset:         224
        .size:           8
        .value_kind:     hidden_global_offset_x
      - .offset:         232
        .size:           8
        .value_kind:     hidden_global_offset_y
      - .offset:         240
        .size:           8
        .value_kind:     hidden_global_offset_z
      - .offset:         248
        .size:           2
        .value_kind:     hidden_grid_dims
    .group_segment_fixed_size: 0
    .kernarg_segment_align: 8
    .kernarg_segment_size: 440
    .language:       OpenCL C
    .language_version:
      - 2
      - 0
    .max_flat_workgroup_size: 1024
    .name:           _ZN2at6native12_GLOBAL__N_143conv_depthwise3d_cuda_backward_input_kernelIN3c108BFloat16EfLi3ELi3ELi3ELin1ELin1ELin1ELi1ELi1ELi1EEEvN5torch10headeronly6detail27GenericPackedTensorAccessorINS7_14TensorAccessorINS3_8ArrayRefIlEEKT_Lm4ENS6_16DefaultPtrTraitsEiEENS_6detail16IndexBoundsCheckILm5EiEESD_Lm5ESE_iEENS8_INS9_ISB_SC_Lm4ESE_iEESI_SC_Lm5ESE_iEESJ_iiiiiiiii
    .private_segment_fixed_size: 12
    .sgpr_count:     106
    .sgpr_spill_count: 6
    .symbol:         _ZN2at6native12_GLOBAL__N_143conv_depthwise3d_cuda_backward_input_kernelIN3c108BFloat16EfLi3ELi3ELi3ELin1ELin1ELin1ELi1ELi1ELi1EEEvN5torch10headeronly6detail27GenericPackedTensorAccessorINS7_14TensorAccessorINS3_8ArrayRefIlEEKT_Lm4ENS6_16DefaultPtrTraitsEiEENS_6detail16IndexBoundsCheckILm5EiEESD_Lm5ESE_iEENS8_INS9_ISB_SC_Lm4ESE_iEESI_SC_Lm5ESE_iEESJ_iiiiiiiii.kd
    .uniform_work_group_size: 1
    .uses_dynamic_stack: false
    .vgpr_count:     128
    .vgpr_spill_count: 2
    .wavefront_size: 64
  - .agpr_count:     0
    .args:
      - .offset:         0
        .size:           48
        .value_kind:     by_value
      - .offset:         48
        .size:           48
        .value_kind:     by_value
      - .offset:         96
        .size:           48
        .value_kind:     by_value
      - .offset:         144
        .size:           4
        .value_kind:     by_value
      - .offset:         148
        .size:           4
        .value_kind:     by_value
      - .offset:         152
        .size:           4
        .value_kind:     by_value
      - .offset:         156
        .size:           4
        .value_kind:     by_value
      - .offset:         160
        .size:           4
        .value_kind:     by_value
      - .offset:         164
        .size:           4
        .value_kind:     by_value
      - .offset:         168
        .size:           4
        .value_kind:     by_value
      - .offset:         172
        .size:           4
        .value_kind:     by_value
      - .offset:         176
        .size:           4
        .value_kind:     by_value
      - .offset:         184
        .size:           4
        .value_kind:     hidden_block_count_x
      - .offset:         188
        .size:           4
        .value_kind:     hidden_block_count_y
      - .offset:         192
        .size:           4
        .value_kind:     hidden_block_count_z
      - .offset:         196
        .size:           2
        .value_kind:     hidden_group_size_x
      - .offset:         198
        .size:           2
        .value_kind:     hidden_group_size_y
      - .offset:         200
        .size:           2
        .value_kind:     hidden_group_size_z
      - .offset:         202
        .size:           2
        .value_kind:     hidden_remainder_x
      - .offset:         204
        .size:           2
        .value_kind:     hidden_remainder_y
      - .offset:         206
        .size:           2
        .value_kind:     hidden_remainder_z
      - .offset:         224
        .size:           8
        .value_kind:     hidden_global_offset_x
      - .offset:         232
        .size:           8
        .value_kind:     hidden_global_offset_y
      - .offset:         240
        .size:           8
        .value_kind:     hidden_global_offset_z
      - .offset:         248
        .size:           2
        .value_kind:     hidden_grid_dims
    .group_segment_fixed_size: 0
    .kernarg_segment_align: 8
    .kernarg_segment_size: 440
    .language:       OpenCL C
    .language_version:
      - 2
      - 0
    .max_flat_workgroup_size: 1024
    .name:           _ZN2at6native12_GLOBAL__N_143conv_depthwise3d_cuda_backward_input_kernelIN3c108BFloat16EfLi3ELi3ELi3ELin1ELin1ELin1ELin1ELin1ELin1EEEvN5torch10headeronly6detail27GenericPackedTensorAccessorINS7_14TensorAccessorINS3_8ArrayRefIlEEKT_Lm4ENS6_16DefaultPtrTraitsEiEENS_6detail16IndexBoundsCheckILm5EiEESD_Lm5ESE_iEENS8_INS9_ISB_SC_Lm4ESE_iEESI_SC_Lm5ESE_iEESJ_iiiiiiiii
    .private_segment_fixed_size: 28
    .sgpr_count:     106
    .sgpr_spill_count: 71
    .symbol:         _ZN2at6native12_GLOBAL__N_143conv_depthwise3d_cuda_backward_input_kernelIN3c108BFloat16EfLi3ELi3ELi3ELin1ELin1ELin1ELin1ELin1ELin1EEEvN5torch10headeronly6detail27GenericPackedTensorAccessorINS7_14TensorAccessorINS3_8ArrayRefIlEEKT_Lm4ENS6_16DefaultPtrTraitsEiEENS_6detail16IndexBoundsCheckILm5EiEESD_Lm5ESE_iEENS8_INS9_ISB_SC_Lm4ESE_iEESI_SC_Lm5ESE_iEESJ_iiiiiiiii.kd
    .uniform_work_group_size: 1
    .uses_dynamic_stack: false
    .vgpr_count:     128
    .vgpr_spill_count: 6
    .wavefront_size: 64
  - .agpr_count:     0
    .args:
      - .offset:         0
        .size:           48
        .value_kind:     by_value
      - .offset:         48
        .size:           48
        .value_kind:     by_value
      - .offset:         96
        .size:           48
        .value_kind:     by_value
      - .offset:         144
        .size:           4
        .value_kind:     by_value
      - .offset:         148
        .size:           4
        .value_kind:     by_value
      - .offset:         152
        .size:           4
        .value_kind:     by_value
      - .offset:         156
        .size:           4
        .value_kind:     by_value
      - .offset:         160
        .size:           4
        .value_kind:     by_value
      - .offset:         164
        .size:           4
        .value_kind:     by_value
      - .offset:         168
        .size:           4
        .value_kind:     by_value
      - .offset:         172
        .size:           4
        .value_kind:     by_value
      - .offset:         176
        .size:           4
        .value_kind:     by_value
      - .offset:         184
        .size:           4
        .value_kind:     hidden_block_count_x
      - .offset:         188
        .size:           4
        .value_kind:     hidden_block_count_y
      - .offset:         192
        .size:           4
        .value_kind:     hidden_block_count_z
      - .offset:         196
        .size:           2
        .value_kind:     hidden_group_size_x
      - .offset:         198
        .size:           2
        .value_kind:     hidden_group_size_y
      - .offset:         200
        .size:           2
        .value_kind:     hidden_group_size_z
      - .offset:         202
        .size:           2
        .value_kind:     hidden_remainder_x
      - .offset:         204
        .size:           2
        .value_kind:     hidden_remainder_y
      - .offset:         206
        .size:           2
        .value_kind:     hidden_remainder_z
      - .offset:         224
        .size:           8
        .value_kind:     hidden_global_offset_x
      - .offset:         232
        .size:           8
        .value_kind:     hidden_global_offset_y
      - .offset:         240
        .size:           8
        .value_kind:     hidden_global_offset_z
      - .offset:         248
        .size:           2
        .value_kind:     hidden_grid_dims
    .group_segment_fixed_size: 0
    .kernarg_segment_align: 8
    .kernarg_segment_size: 440
    .language:       OpenCL C
    .language_version:
      - 2
      - 0
    .max_flat_workgroup_size: 1024
    .name:           _ZN2at6native12_GLOBAL__N_143conv_depthwise3d_cuda_backward_input_kernelIN3c108BFloat16EfLin1ELin1ELin1ELin1ELin1ELin1ELin1ELin1ELin1EEEvN5torch10headeronly6detail27GenericPackedTensorAccessorINS7_14TensorAccessorINS3_8ArrayRefIlEEKT_Lm4ENS6_16DefaultPtrTraitsEiEENS_6detail16IndexBoundsCheckILm5EiEESD_Lm5ESE_iEENS8_INS9_ISB_SC_Lm4ESE_iEESI_SC_Lm5ESE_iEESJ_iiiiiiiii
    .private_segment_fixed_size: 0
    .sgpr_count:     90
    .sgpr_spill_count: 0
    .symbol:         _ZN2at6native12_GLOBAL__N_143conv_depthwise3d_cuda_backward_input_kernelIN3c108BFloat16EfLin1ELin1ELin1ELin1ELin1ELin1ELin1ELin1ELin1EEEvN5torch10headeronly6detail27GenericPackedTensorAccessorINS7_14TensorAccessorINS3_8ArrayRefIlEEKT_Lm4ENS6_16DefaultPtrTraitsEiEENS_6detail16IndexBoundsCheckILm5EiEESD_Lm5ESE_iEENS8_INS9_ISB_SC_Lm4ESE_iEESI_SC_Lm5ESE_iEESJ_iiiiiiiii.kd
    .uniform_work_group_size: 1
    .uses_dynamic_stack: false
    .vgpr_count:     35
    .vgpr_spill_count: 0
    .wavefront_size: 64
  - .agpr_count:     0
    .args:
      - .offset:         0
        .size:           48
        .value_kind:     by_value
      - .offset:         48
        .size:           48
        .value_kind:     by_value
      - .offset:         96
        .size:           48
        .value_kind:     by_value
      - .offset:         144
        .size:           4
        .value_kind:     by_value
      - .offset:         148
        .size:           4
        .value_kind:     by_value
      - .offset:         152
        .size:           4
        .value_kind:     by_value
      - .offset:         156
        .size:           4
        .value_kind:     by_value
      - .offset:         160
        .size:           4
        .value_kind:     by_value
      - .offset:         164
        .size:           4
        .value_kind:     by_value
      - .offset:         168
        .size:           4
        .value_kind:     by_value
      - .offset:         172
        .size:           4
        .value_kind:     by_value
      - .offset:         176
        .size:           4
        .value_kind:     by_value
      - .offset:         184
        .size:           4
        .value_kind:     hidden_block_count_x
      - .offset:         188
        .size:           4
        .value_kind:     hidden_block_count_y
      - .offset:         192
        .size:           4
        .value_kind:     hidden_block_count_z
      - .offset:         196
        .size:           2
        .value_kind:     hidden_group_size_x
      - .offset:         198
        .size:           2
        .value_kind:     hidden_group_size_y
      - .offset:         200
        .size:           2
        .value_kind:     hidden_group_size_z
      - .offset:         202
        .size:           2
        .value_kind:     hidden_remainder_x
      - .offset:         204
        .size:           2
        .value_kind:     hidden_remainder_y
      - .offset:         206
        .size:           2
        .value_kind:     hidden_remainder_z
      - .offset:         224
        .size:           8
        .value_kind:     hidden_global_offset_x
      - .offset:         232
        .size:           8
        .value_kind:     hidden_global_offset_y
      - .offset:         240
        .size:           8
        .value_kind:     hidden_global_offset_z
      - .offset:         248
        .size:           2
        .value_kind:     hidden_grid_dims
      - .offset:         304
        .size:           4
        .value_kind:     hidden_dynamic_lds_size
    .group_segment_fixed_size: 0
    .kernarg_segment_align: 8
    .kernarg_segment_size: 440
    .language:       OpenCL C
    .language_version:
      - 2
      - 0
    .max_flat_workgroup_size: 1024
    .name:           _ZN2at6native12_GLOBAL__N_144conv_depthwise3d_cuda_backward_weight_kernelIddLi1ELi1EEEvN5torch10headeronly6detail27GenericPackedTensorAccessorINS5_14TensorAccessorIN3c108ArrayRefIlEEKT_Lm4ENS4_16DefaultPtrTraitsEiEENS_6detail16IndexBoundsCheckILm5EiEESC_Lm5ESD_iEESI_NS6_INS7_ISA_SB_Lm4ESD_iEESH_SB_Lm5ESD_iEEiiiiiiiii
    .private_segment_fixed_size: 0
    .sgpr_count:     59
    .sgpr_spill_count: 0
    .symbol:         _ZN2at6native12_GLOBAL__N_144conv_depthwise3d_cuda_backward_weight_kernelIddLi1ELi1EEEvN5torch10headeronly6detail27GenericPackedTensorAccessorINS5_14TensorAccessorIN3c108ArrayRefIlEEKT_Lm4ENS4_16DefaultPtrTraitsEiEENS_6detail16IndexBoundsCheckILm5EiEESC_Lm5ESD_iEESI_NS6_INS7_ISA_SB_Lm4ESD_iEESH_SB_Lm5ESD_iEEiiiiiiiii.kd
    .uniform_work_group_size: 1
    .uses_dynamic_stack: false
    .vgpr_count:     22
    .vgpr_spill_count: 0
    .wavefront_size: 64
  - .agpr_count:     0
    .args:
      - .offset:         0
        .size:           48
        .value_kind:     by_value
      - .offset:         48
        .size:           48
        .value_kind:     by_value
      - .offset:         96
        .size:           48
        .value_kind:     by_value
      - .offset:         144
        .size:           4
        .value_kind:     by_value
      - .offset:         148
        .size:           4
        .value_kind:     by_value
      - .offset:         152
        .size:           4
        .value_kind:     by_value
      - .offset:         156
        .size:           4
        .value_kind:     by_value
      - .offset:         160
        .size:           4
        .value_kind:     by_value
      - .offset:         164
        .size:           4
        .value_kind:     by_value
      - .offset:         168
        .size:           4
        .value_kind:     by_value
      - .offset:         172
        .size:           4
        .value_kind:     by_value
      - .offset:         176
        .size:           4
        .value_kind:     by_value
      - .offset:         184
        .size:           4
        .value_kind:     hidden_block_count_x
      - .offset:         188
        .size:           4
        .value_kind:     hidden_block_count_y
      - .offset:         192
        .size:           4
        .value_kind:     hidden_block_count_z
      - .offset:         196
        .size:           2
        .value_kind:     hidden_group_size_x
      - .offset:         198
        .size:           2
        .value_kind:     hidden_group_size_y
      - .offset:         200
        .size:           2
        .value_kind:     hidden_group_size_z
      - .offset:         202
        .size:           2
        .value_kind:     hidden_remainder_x
      - .offset:         204
        .size:           2
        .value_kind:     hidden_remainder_y
      - .offset:         206
        .size:           2
        .value_kind:     hidden_remainder_z
      - .offset:         224
        .size:           8
        .value_kind:     hidden_global_offset_x
      - .offset:         232
        .size:           8
        .value_kind:     hidden_global_offset_y
      - .offset:         240
        .size:           8
        .value_kind:     hidden_global_offset_z
      - .offset:         248
        .size:           2
        .value_kind:     hidden_grid_dims
      - .offset:         304
        .size:           4
        .value_kind:     hidden_dynamic_lds_size
    .group_segment_fixed_size: 0
    .kernarg_segment_align: 8
    .kernarg_segment_size: 440
    .language:       OpenCL C
    .language_version:
      - 2
      - 0
    .max_flat_workgroup_size: 1024
    .name:           _ZN2at6native12_GLOBAL__N_144conv_depthwise3d_cuda_backward_weight_kernelIddLi2ELi2EEEvN5torch10headeronly6detail27GenericPackedTensorAccessorINS5_14TensorAccessorIN3c108ArrayRefIlEEKT_Lm4ENS4_16DefaultPtrTraitsEiEENS_6detail16IndexBoundsCheckILm5EiEESC_Lm5ESD_iEESI_NS6_INS7_ISA_SB_Lm4ESD_iEESH_SB_Lm5ESD_iEEiiiiiiiii
    .private_segment_fixed_size: 0
    .sgpr_count:     59
    .sgpr_spill_count: 0
    .symbol:         _ZN2at6native12_GLOBAL__N_144conv_depthwise3d_cuda_backward_weight_kernelIddLi2ELi2EEEvN5torch10headeronly6detail27GenericPackedTensorAccessorINS5_14TensorAccessorIN3c108ArrayRefIlEEKT_Lm4ENS4_16DefaultPtrTraitsEiEENS_6detail16IndexBoundsCheckILm5EiEESC_Lm5ESD_iEESI_NS6_INS7_ISA_SB_Lm4ESD_iEESH_SB_Lm5ESD_iEEiiiiiiiii.kd
    .uniform_work_group_size: 1
    .uses_dynamic_stack: false
    .vgpr_count:     22
    .vgpr_spill_count: 0
    .wavefront_size: 64
  - .agpr_count:     0
    .args:
      - .offset:         0
        .size:           48
        .value_kind:     by_value
      - .offset:         48
        .size:           48
        .value_kind:     by_value
      - .offset:         96
        .size:           48
        .value_kind:     by_value
      - .offset:         144
        .size:           4
        .value_kind:     by_value
      - .offset:         148
        .size:           4
        .value_kind:     by_value
      - .offset:         152
        .size:           4
        .value_kind:     by_value
      - .offset:         156
        .size:           4
        .value_kind:     by_value
      - .offset:         160
        .size:           4
        .value_kind:     by_value
      - .offset:         164
        .size:           4
        .value_kind:     by_value
      - .offset:         168
        .size:           4
        .value_kind:     by_value
      - .offset:         172
        .size:           4
        .value_kind:     by_value
      - .offset:         176
        .size:           4
        .value_kind:     by_value
      - .offset:         184
        .size:           4
        .value_kind:     hidden_block_count_x
      - .offset:         188
        .size:           4
        .value_kind:     hidden_block_count_y
      - .offset:         192
        .size:           4
        .value_kind:     hidden_block_count_z
      - .offset:         196
        .size:           2
        .value_kind:     hidden_group_size_x
      - .offset:         198
        .size:           2
        .value_kind:     hidden_group_size_y
      - .offset:         200
        .size:           2
        .value_kind:     hidden_group_size_z
      - .offset:         202
        .size:           2
        .value_kind:     hidden_remainder_x
      - .offset:         204
        .size:           2
        .value_kind:     hidden_remainder_y
      - .offset:         206
        .size:           2
        .value_kind:     hidden_remainder_z
      - .offset:         224
        .size:           8
        .value_kind:     hidden_global_offset_x
      - .offset:         232
        .size:           8
        .value_kind:     hidden_global_offset_y
      - .offset:         240
        .size:           8
        .value_kind:     hidden_global_offset_z
      - .offset:         248
        .size:           2
        .value_kind:     hidden_grid_dims
      - .offset:         304
        .size:           4
        .value_kind:     hidden_dynamic_lds_size
    .group_segment_fixed_size: 0
    .kernarg_segment_align: 8
    .kernarg_segment_size: 440
    .language:       OpenCL C
    .language_version:
      - 2
      - 0
    .max_flat_workgroup_size: 1024
    .name:           _ZN2at6native12_GLOBAL__N_144conv_depthwise3d_cuda_backward_weight_kernelIddLin1ELin1EEEvN5torch10headeronly6detail27GenericPackedTensorAccessorINS5_14TensorAccessorIN3c108ArrayRefIlEEKT_Lm4ENS4_16DefaultPtrTraitsEiEENS_6detail16IndexBoundsCheckILm5EiEESC_Lm5ESD_iEESI_NS6_INS7_ISA_SB_Lm4ESD_iEESH_SB_Lm5ESD_iEEiiiiiiiii
    .private_segment_fixed_size: 0
    .sgpr_count:     61
    .sgpr_spill_count: 0
    .symbol:         _ZN2at6native12_GLOBAL__N_144conv_depthwise3d_cuda_backward_weight_kernelIddLin1ELin1EEEvN5torch10headeronly6detail27GenericPackedTensorAccessorINS5_14TensorAccessorIN3c108ArrayRefIlEEKT_Lm4ENS4_16DefaultPtrTraitsEiEENS_6detail16IndexBoundsCheckILm5EiEESC_Lm5ESD_iEESI_NS6_INS7_ISA_SB_Lm4ESD_iEESH_SB_Lm5ESD_iEEiiiiiiiii.kd
    .uniform_work_group_size: 1
    .uses_dynamic_stack: false
    .vgpr_count:     22
    .vgpr_spill_count: 0
    .wavefront_size: 64
  - .agpr_count:     0
    .args:
      - .offset:         0
        .size:           48
        .value_kind:     by_value
      - .offset:         48
        .size:           48
        .value_kind:     by_value
      - .offset:         96
        .size:           48
        .value_kind:     by_value
      - .offset:         144
        .size:           4
        .value_kind:     by_value
      - .offset:         148
        .size:           4
        .value_kind:     by_value
      - .offset:         152
        .size:           4
        .value_kind:     by_value
      - .offset:         156
        .size:           4
        .value_kind:     by_value
      - .offset:         160
        .size:           4
        .value_kind:     by_value
      - .offset:         164
        .size:           4
        .value_kind:     by_value
      - .offset:         168
        .size:           4
        .value_kind:     by_value
      - .offset:         172
        .size:           4
        .value_kind:     by_value
      - .offset:         176
        .size:           4
        .value_kind:     by_value
      - .offset:         184
        .size:           4
        .value_kind:     hidden_block_count_x
      - .offset:         188
        .size:           4
        .value_kind:     hidden_block_count_y
      - .offset:         192
        .size:           4
        .value_kind:     hidden_block_count_z
      - .offset:         196
        .size:           2
        .value_kind:     hidden_group_size_x
      - .offset:         198
        .size:           2
        .value_kind:     hidden_group_size_y
      - .offset:         200
        .size:           2
        .value_kind:     hidden_group_size_z
      - .offset:         202
        .size:           2
        .value_kind:     hidden_remainder_x
      - .offset:         204
        .size:           2
        .value_kind:     hidden_remainder_y
      - .offset:         206
        .size:           2
        .value_kind:     hidden_remainder_z
      - .offset:         224
        .size:           8
        .value_kind:     hidden_global_offset_x
      - .offset:         232
        .size:           8
        .value_kind:     hidden_global_offset_y
      - .offset:         240
        .size:           8
        .value_kind:     hidden_global_offset_z
      - .offset:         248
        .size:           2
        .value_kind:     hidden_grid_dims
      - .offset:         304
        .size:           4
        .value_kind:     hidden_dynamic_lds_size
    .group_segment_fixed_size: 0
    .kernarg_segment_align: 8
    .kernarg_segment_size: 440
    .language:       OpenCL C
    .language_version:
      - 2
      - 0
    .max_flat_workgroup_size: 1024
    .name:           _ZN2at6native12_GLOBAL__N_144conv_depthwise3d_cuda_backward_weight_kernelIffLi1ELi1EEEvN5torch10headeronly6detail27GenericPackedTensorAccessorINS5_14TensorAccessorIN3c108ArrayRefIlEEKT_Lm4ENS4_16DefaultPtrTraitsEiEENS_6detail16IndexBoundsCheckILm5EiEESC_Lm5ESD_iEESI_NS6_INS7_ISA_SB_Lm4ESD_iEESH_SB_Lm5ESD_iEEiiiiiiiii
    .private_segment_fixed_size: 0
    .sgpr_count:     59
    .sgpr_spill_count: 0
    .symbol:         _ZN2at6native12_GLOBAL__N_144conv_depthwise3d_cuda_backward_weight_kernelIffLi1ELi1EEEvN5torch10headeronly6detail27GenericPackedTensorAccessorINS5_14TensorAccessorIN3c108ArrayRefIlEEKT_Lm4ENS4_16DefaultPtrTraitsEiEENS_6detail16IndexBoundsCheckILm5EiEESC_Lm5ESD_iEESI_NS6_INS7_ISA_SB_Lm4ESD_iEESH_SB_Lm5ESD_iEEiiiiiiiii.kd
    .uniform_work_group_size: 1
    .uses_dynamic_stack: false
    .vgpr_count:     20
    .vgpr_spill_count: 0
    .wavefront_size: 64
  - .agpr_count:     0
    .args:
      - .offset:         0
        .size:           48
        .value_kind:     by_value
      - .offset:         48
        .size:           48
        .value_kind:     by_value
      - .offset:         96
        .size:           48
        .value_kind:     by_value
      - .offset:         144
        .size:           4
        .value_kind:     by_value
      - .offset:         148
        .size:           4
        .value_kind:     by_value
      - .offset:         152
        .size:           4
        .value_kind:     by_value
      - .offset:         156
        .size:           4
        .value_kind:     by_value
      - .offset:         160
        .size:           4
        .value_kind:     by_value
      - .offset:         164
        .size:           4
        .value_kind:     by_value
      - .offset:         168
        .size:           4
        .value_kind:     by_value
      - .offset:         172
        .size:           4
        .value_kind:     by_value
      - .offset:         176
        .size:           4
        .value_kind:     by_value
      - .offset:         184
        .size:           4
        .value_kind:     hidden_block_count_x
      - .offset:         188
        .size:           4
        .value_kind:     hidden_block_count_y
      - .offset:         192
        .size:           4
        .value_kind:     hidden_block_count_z
      - .offset:         196
        .size:           2
        .value_kind:     hidden_group_size_x
      - .offset:         198
        .size:           2
        .value_kind:     hidden_group_size_y
      - .offset:         200
        .size:           2
        .value_kind:     hidden_group_size_z
      - .offset:         202
        .size:           2
        .value_kind:     hidden_remainder_x
      - .offset:         204
        .size:           2
        .value_kind:     hidden_remainder_y
      - .offset:         206
        .size:           2
        .value_kind:     hidden_remainder_z
      - .offset:         224
        .size:           8
        .value_kind:     hidden_global_offset_x
      - .offset:         232
        .size:           8
        .value_kind:     hidden_global_offset_y
      - .offset:         240
        .size:           8
        .value_kind:     hidden_global_offset_z
      - .offset:         248
        .size:           2
        .value_kind:     hidden_grid_dims
      - .offset:         304
        .size:           4
        .value_kind:     hidden_dynamic_lds_size
    .group_segment_fixed_size: 0
    .kernarg_segment_align: 8
    .kernarg_segment_size: 440
    .language:       OpenCL C
    .language_version:
      - 2
      - 0
    .max_flat_workgroup_size: 1024
    .name:           _ZN2at6native12_GLOBAL__N_144conv_depthwise3d_cuda_backward_weight_kernelIffLi2ELi2EEEvN5torch10headeronly6detail27GenericPackedTensorAccessorINS5_14TensorAccessorIN3c108ArrayRefIlEEKT_Lm4ENS4_16DefaultPtrTraitsEiEENS_6detail16IndexBoundsCheckILm5EiEESC_Lm5ESD_iEESI_NS6_INS7_ISA_SB_Lm4ESD_iEESH_SB_Lm5ESD_iEEiiiiiiiii
    .private_segment_fixed_size: 0
    .sgpr_count:     59
    .sgpr_spill_count: 0
    .symbol:         _ZN2at6native12_GLOBAL__N_144conv_depthwise3d_cuda_backward_weight_kernelIffLi2ELi2EEEvN5torch10headeronly6detail27GenericPackedTensorAccessorINS5_14TensorAccessorIN3c108ArrayRefIlEEKT_Lm4ENS4_16DefaultPtrTraitsEiEENS_6detail16IndexBoundsCheckILm5EiEESC_Lm5ESD_iEESI_NS6_INS7_ISA_SB_Lm4ESD_iEESH_SB_Lm5ESD_iEEiiiiiiiii.kd
    .uniform_work_group_size: 1
    .uses_dynamic_stack: false
    .vgpr_count:     20
    .vgpr_spill_count: 0
    .wavefront_size: 64
  - .agpr_count:     0
    .args:
      - .offset:         0
        .size:           48
        .value_kind:     by_value
      - .offset:         48
        .size:           48
        .value_kind:     by_value
      - .offset:         96
        .size:           48
        .value_kind:     by_value
      - .offset:         144
        .size:           4
        .value_kind:     by_value
      - .offset:         148
        .size:           4
        .value_kind:     by_value
      - .offset:         152
        .size:           4
        .value_kind:     by_value
      - .offset:         156
        .size:           4
        .value_kind:     by_value
      - .offset:         160
        .size:           4
        .value_kind:     by_value
      - .offset:         164
        .size:           4
        .value_kind:     by_value
      - .offset:         168
        .size:           4
        .value_kind:     by_value
      - .offset:         172
        .size:           4
        .value_kind:     by_value
      - .offset:         176
        .size:           4
        .value_kind:     by_value
      - .offset:         184
        .size:           4
        .value_kind:     hidden_block_count_x
      - .offset:         188
        .size:           4
        .value_kind:     hidden_block_count_y
      - .offset:         192
        .size:           4
        .value_kind:     hidden_block_count_z
      - .offset:         196
        .size:           2
        .value_kind:     hidden_group_size_x
      - .offset:         198
        .size:           2
        .value_kind:     hidden_group_size_y
      - .offset:         200
        .size:           2
        .value_kind:     hidden_group_size_z
      - .offset:         202
        .size:           2
        .value_kind:     hidden_remainder_x
      - .offset:         204
        .size:           2
        .value_kind:     hidden_remainder_y
      - .offset:         206
        .size:           2
        .value_kind:     hidden_remainder_z
      - .offset:         224
        .size:           8
        .value_kind:     hidden_global_offset_x
      - .offset:         232
        .size:           8
        .value_kind:     hidden_global_offset_y
      - .offset:         240
        .size:           8
        .value_kind:     hidden_global_offset_z
      - .offset:         248
        .size:           2
        .value_kind:     hidden_grid_dims
      - .offset:         304
        .size:           4
        .value_kind:     hidden_dynamic_lds_size
    .group_segment_fixed_size: 0
    .kernarg_segment_align: 8
    .kernarg_segment_size: 440
    .language:       OpenCL C
    .language_version:
      - 2
      - 0
    .max_flat_workgroup_size: 1024
    .name:           _ZN2at6native12_GLOBAL__N_144conv_depthwise3d_cuda_backward_weight_kernelIffLin1ELin1EEEvN5torch10headeronly6detail27GenericPackedTensorAccessorINS5_14TensorAccessorIN3c108ArrayRefIlEEKT_Lm4ENS4_16DefaultPtrTraitsEiEENS_6detail16IndexBoundsCheckILm5EiEESC_Lm5ESD_iEESI_NS6_INS7_ISA_SB_Lm4ESD_iEESH_SB_Lm5ESD_iEEiiiiiiiii
    .private_segment_fixed_size: 0
    .sgpr_count:     61
    .sgpr_spill_count: 0
    .symbol:         _ZN2at6native12_GLOBAL__N_144conv_depthwise3d_cuda_backward_weight_kernelIffLin1ELin1EEEvN5torch10headeronly6detail27GenericPackedTensorAccessorINS5_14TensorAccessorIN3c108ArrayRefIlEEKT_Lm4ENS4_16DefaultPtrTraitsEiEENS_6detail16IndexBoundsCheckILm5EiEESC_Lm5ESD_iEESI_NS6_INS7_ISA_SB_Lm4ESD_iEESH_SB_Lm5ESD_iEEiiiiiiiii.kd
    .uniform_work_group_size: 1
    .uses_dynamic_stack: false
    .vgpr_count:     20
    .vgpr_spill_count: 0
    .wavefront_size: 64
  - .agpr_count:     0
    .args:
      - .offset:         0
        .size:           48
        .value_kind:     by_value
      - .offset:         48
        .size:           48
        .value_kind:     by_value
      - .offset:         96
        .size:           48
        .value_kind:     by_value
      - .offset:         144
        .size:           4
        .value_kind:     by_value
      - .offset:         148
        .size:           4
        .value_kind:     by_value
      - .offset:         152
        .size:           4
        .value_kind:     by_value
      - .offset:         156
        .size:           4
        .value_kind:     by_value
      - .offset:         160
        .size:           4
        .value_kind:     by_value
      - .offset:         164
        .size:           4
        .value_kind:     by_value
      - .offset:         168
        .size:           4
        .value_kind:     by_value
      - .offset:         172
        .size:           4
        .value_kind:     by_value
      - .offset:         176
        .size:           4
        .value_kind:     by_value
      - .offset:         184
        .size:           4
        .value_kind:     hidden_block_count_x
      - .offset:         188
        .size:           4
        .value_kind:     hidden_block_count_y
      - .offset:         192
        .size:           4
        .value_kind:     hidden_block_count_z
      - .offset:         196
        .size:           2
        .value_kind:     hidden_group_size_x
      - .offset:         198
        .size:           2
        .value_kind:     hidden_group_size_y
      - .offset:         200
        .size:           2
        .value_kind:     hidden_group_size_z
      - .offset:         202
        .size:           2
        .value_kind:     hidden_remainder_x
      - .offset:         204
        .size:           2
        .value_kind:     hidden_remainder_y
      - .offset:         206
        .size:           2
        .value_kind:     hidden_remainder_z
      - .offset:         224
        .size:           8
        .value_kind:     hidden_global_offset_x
      - .offset:         232
        .size:           8
        .value_kind:     hidden_global_offset_y
      - .offset:         240
        .size:           8
        .value_kind:     hidden_global_offset_z
      - .offset:         248
        .size:           2
        .value_kind:     hidden_grid_dims
      - .offset:         304
        .size:           4
        .value_kind:     hidden_dynamic_lds_size
    .group_segment_fixed_size: 0
    .kernarg_segment_align: 8
    .kernarg_segment_size: 440
    .language:       OpenCL C
    .language_version:
      - 2
      - 0
    .max_flat_workgroup_size: 1024
    .name:           _ZN2at6native12_GLOBAL__N_144conv_depthwise3d_cuda_backward_weight_kernelIN3c104HalfEfLi1ELi1EEEvN5torch10headeronly6detail27GenericPackedTensorAccessorINS7_14TensorAccessorINS3_8ArrayRefIlEEKT_Lm4ENS6_16DefaultPtrTraitsEiEENS_6detail16IndexBoundsCheckILm5EiEESD_Lm5ESE_iEESJ_NS8_INS9_ISB_SC_Lm4ESE_iEESI_SC_Lm5ESE_iEEiiiiiiiii
    .private_segment_fixed_size: 0
    .sgpr_count:     59
    .sgpr_spill_count: 0
    .symbol:         _ZN2at6native12_GLOBAL__N_144conv_depthwise3d_cuda_backward_weight_kernelIN3c104HalfEfLi1ELi1EEEvN5torch10headeronly6detail27GenericPackedTensorAccessorINS7_14TensorAccessorINS3_8ArrayRefIlEEKT_Lm4ENS6_16DefaultPtrTraitsEiEENS_6detail16IndexBoundsCheckILm5EiEESD_Lm5ESE_iEESJ_NS8_INS9_ISB_SC_Lm4ESE_iEESI_SC_Lm5ESE_iEEiiiiiiiii.kd
    .uniform_work_group_size: 1
    .uses_dynamic_stack: false
    .vgpr_count:     20
    .vgpr_spill_count: 0
    .wavefront_size: 64
  - .agpr_count:     0
    .args:
      - .offset:         0
        .size:           48
        .value_kind:     by_value
      - .offset:         48
        .size:           48
        .value_kind:     by_value
      - .offset:         96
        .size:           48
        .value_kind:     by_value
      - .offset:         144
        .size:           4
        .value_kind:     by_value
      - .offset:         148
        .size:           4
        .value_kind:     by_value
      - .offset:         152
        .size:           4
        .value_kind:     by_value
      - .offset:         156
        .size:           4
        .value_kind:     by_value
      - .offset:         160
        .size:           4
        .value_kind:     by_value
      - .offset:         164
        .size:           4
        .value_kind:     by_value
      - .offset:         168
        .size:           4
        .value_kind:     by_value
      - .offset:         172
        .size:           4
        .value_kind:     by_value
      - .offset:         176
        .size:           4
        .value_kind:     by_value
      - .offset:         184
        .size:           4
        .value_kind:     hidden_block_count_x
      - .offset:         188
        .size:           4
        .value_kind:     hidden_block_count_y
      - .offset:         192
        .size:           4
        .value_kind:     hidden_block_count_z
      - .offset:         196
        .size:           2
        .value_kind:     hidden_group_size_x
      - .offset:         198
        .size:           2
        .value_kind:     hidden_group_size_y
      - .offset:         200
        .size:           2
        .value_kind:     hidden_group_size_z
      - .offset:         202
        .size:           2
        .value_kind:     hidden_remainder_x
      - .offset:         204
        .size:           2
        .value_kind:     hidden_remainder_y
      - .offset:         206
        .size:           2
        .value_kind:     hidden_remainder_z
      - .offset:         224
        .size:           8
        .value_kind:     hidden_global_offset_x
      - .offset:         232
        .size:           8
        .value_kind:     hidden_global_offset_y
      - .offset:         240
        .size:           8
        .value_kind:     hidden_global_offset_z
      - .offset:         248
        .size:           2
        .value_kind:     hidden_grid_dims
      - .offset:         304
        .size:           4
        .value_kind:     hidden_dynamic_lds_size
    .group_segment_fixed_size: 0
    .kernarg_segment_align: 8
    .kernarg_segment_size: 440
    .language:       OpenCL C
    .language_version:
      - 2
      - 0
    .max_flat_workgroup_size: 1024
    .name:           _ZN2at6native12_GLOBAL__N_144conv_depthwise3d_cuda_backward_weight_kernelIN3c104HalfEfLi2ELi2EEEvN5torch10headeronly6detail27GenericPackedTensorAccessorINS7_14TensorAccessorINS3_8ArrayRefIlEEKT_Lm4ENS6_16DefaultPtrTraitsEiEENS_6detail16IndexBoundsCheckILm5EiEESD_Lm5ESE_iEESJ_NS8_INS9_ISB_SC_Lm4ESE_iEESI_SC_Lm5ESE_iEEiiiiiiiii
    .private_segment_fixed_size: 0
    .sgpr_count:     59
    .sgpr_spill_count: 0
    .symbol:         _ZN2at6native12_GLOBAL__N_144conv_depthwise3d_cuda_backward_weight_kernelIN3c104HalfEfLi2ELi2EEEvN5torch10headeronly6detail27GenericPackedTensorAccessorINS7_14TensorAccessorINS3_8ArrayRefIlEEKT_Lm4ENS6_16DefaultPtrTraitsEiEENS_6detail16IndexBoundsCheckILm5EiEESD_Lm5ESE_iEESJ_NS8_INS9_ISB_SC_Lm4ESE_iEESI_SC_Lm5ESE_iEEiiiiiiiii.kd
    .uniform_work_group_size: 1
    .uses_dynamic_stack: false
    .vgpr_count:     20
    .vgpr_spill_count: 0
    .wavefront_size: 64
  - .agpr_count:     0
    .args:
      - .offset:         0
        .size:           48
        .value_kind:     by_value
      - .offset:         48
        .size:           48
        .value_kind:     by_value
      - .offset:         96
        .size:           48
        .value_kind:     by_value
      - .offset:         144
        .size:           4
        .value_kind:     by_value
      - .offset:         148
        .size:           4
        .value_kind:     by_value
      - .offset:         152
        .size:           4
        .value_kind:     by_value
      - .offset:         156
        .size:           4
        .value_kind:     by_value
      - .offset:         160
        .size:           4
        .value_kind:     by_value
      - .offset:         164
        .size:           4
        .value_kind:     by_value
      - .offset:         168
        .size:           4
        .value_kind:     by_value
      - .offset:         172
        .size:           4
        .value_kind:     by_value
      - .offset:         176
        .size:           4
        .value_kind:     by_value
      - .offset:         184
        .size:           4
        .value_kind:     hidden_block_count_x
      - .offset:         188
        .size:           4
        .value_kind:     hidden_block_count_y
      - .offset:         192
        .size:           4
        .value_kind:     hidden_block_count_z
      - .offset:         196
        .size:           2
        .value_kind:     hidden_group_size_x
      - .offset:         198
        .size:           2
        .value_kind:     hidden_group_size_y
      - .offset:         200
        .size:           2
        .value_kind:     hidden_group_size_z
      - .offset:         202
        .size:           2
        .value_kind:     hidden_remainder_x
      - .offset:         204
        .size:           2
        .value_kind:     hidden_remainder_y
      - .offset:         206
        .size:           2
        .value_kind:     hidden_remainder_z
      - .offset:         224
        .size:           8
        .value_kind:     hidden_global_offset_x
      - .offset:         232
        .size:           8
        .value_kind:     hidden_global_offset_y
      - .offset:         240
        .size:           8
        .value_kind:     hidden_global_offset_z
      - .offset:         248
        .size:           2
        .value_kind:     hidden_grid_dims
      - .offset:         304
        .size:           4
        .value_kind:     hidden_dynamic_lds_size
    .group_segment_fixed_size: 0
    .kernarg_segment_align: 8
    .kernarg_segment_size: 440
    .language:       OpenCL C
    .language_version:
      - 2
      - 0
    .max_flat_workgroup_size: 1024
    .name:           _ZN2at6native12_GLOBAL__N_144conv_depthwise3d_cuda_backward_weight_kernelIN3c104HalfEfLin1ELin1EEEvN5torch10headeronly6detail27GenericPackedTensorAccessorINS7_14TensorAccessorINS3_8ArrayRefIlEEKT_Lm4ENS6_16DefaultPtrTraitsEiEENS_6detail16IndexBoundsCheckILm5EiEESD_Lm5ESE_iEESJ_NS8_INS9_ISB_SC_Lm4ESE_iEESI_SC_Lm5ESE_iEEiiiiiiiii
    .private_segment_fixed_size: 0
    .sgpr_count:     61
    .sgpr_spill_count: 0
    .symbol:         _ZN2at6native12_GLOBAL__N_144conv_depthwise3d_cuda_backward_weight_kernelIN3c104HalfEfLin1ELin1EEEvN5torch10headeronly6detail27GenericPackedTensorAccessorINS7_14TensorAccessorINS3_8ArrayRefIlEEKT_Lm4ENS6_16DefaultPtrTraitsEiEENS_6detail16IndexBoundsCheckILm5EiEESD_Lm5ESE_iEESJ_NS8_INS9_ISB_SC_Lm4ESE_iEESI_SC_Lm5ESE_iEEiiiiiiiii.kd
    .uniform_work_group_size: 1
    .uses_dynamic_stack: false
    .vgpr_count:     20
    .vgpr_spill_count: 0
    .wavefront_size: 64
  - .agpr_count:     0
    .args:
      - .offset:         0
        .size:           48
        .value_kind:     by_value
      - .offset:         48
        .size:           48
        .value_kind:     by_value
      - .offset:         96
        .size:           48
        .value_kind:     by_value
      - .offset:         144
        .size:           4
        .value_kind:     by_value
      - .offset:         148
        .size:           4
        .value_kind:     by_value
      - .offset:         152
        .size:           4
        .value_kind:     by_value
      - .offset:         156
        .size:           4
        .value_kind:     by_value
      - .offset:         160
        .size:           4
        .value_kind:     by_value
      - .offset:         164
        .size:           4
        .value_kind:     by_value
      - .offset:         168
        .size:           4
        .value_kind:     by_value
      - .offset:         172
        .size:           4
        .value_kind:     by_value
      - .offset:         176
        .size:           4
        .value_kind:     by_value
      - .offset:         184
        .size:           4
        .value_kind:     hidden_block_count_x
      - .offset:         188
        .size:           4
        .value_kind:     hidden_block_count_y
      - .offset:         192
        .size:           4
        .value_kind:     hidden_block_count_z
      - .offset:         196
        .size:           2
        .value_kind:     hidden_group_size_x
      - .offset:         198
        .size:           2
        .value_kind:     hidden_group_size_y
      - .offset:         200
        .size:           2
        .value_kind:     hidden_group_size_z
      - .offset:         202
        .size:           2
        .value_kind:     hidden_remainder_x
      - .offset:         204
        .size:           2
        .value_kind:     hidden_remainder_y
      - .offset:         206
        .size:           2
        .value_kind:     hidden_remainder_z
      - .offset:         224
        .size:           8
        .value_kind:     hidden_global_offset_x
      - .offset:         232
        .size:           8
        .value_kind:     hidden_global_offset_y
      - .offset:         240
        .size:           8
        .value_kind:     hidden_global_offset_z
      - .offset:         248
        .size:           2
        .value_kind:     hidden_grid_dims
      - .offset:         304
        .size:           4
        .value_kind:     hidden_dynamic_lds_size
    .group_segment_fixed_size: 0
    .kernarg_segment_align: 8
    .kernarg_segment_size: 440
    .language:       OpenCL C
    .language_version:
      - 2
      - 0
    .max_flat_workgroup_size: 1024
    .name:           _ZN2at6native12_GLOBAL__N_144conv_depthwise3d_cuda_backward_weight_kernelIN3c108BFloat16EfLi1ELi1EEEvN5torch10headeronly6detail27GenericPackedTensorAccessorINS7_14TensorAccessorINS3_8ArrayRefIlEEKT_Lm4ENS6_16DefaultPtrTraitsEiEENS_6detail16IndexBoundsCheckILm5EiEESD_Lm5ESE_iEESJ_NS8_INS9_ISB_SC_Lm4ESE_iEESI_SC_Lm5ESE_iEEiiiiiiiii
    .private_segment_fixed_size: 0
    .sgpr_count:     59
    .sgpr_spill_count: 0
    .symbol:         _ZN2at6native12_GLOBAL__N_144conv_depthwise3d_cuda_backward_weight_kernelIN3c108BFloat16EfLi1ELi1EEEvN5torch10headeronly6detail27GenericPackedTensorAccessorINS7_14TensorAccessorINS3_8ArrayRefIlEEKT_Lm4ENS6_16DefaultPtrTraitsEiEENS_6detail16IndexBoundsCheckILm5EiEESD_Lm5ESE_iEESJ_NS8_INS9_ISB_SC_Lm4ESE_iEESI_SC_Lm5ESE_iEEiiiiiiiii.kd
    .uniform_work_group_size: 1
    .uses_dynamic_stack: false
    .vgpr_count:     20
    .vgpr_spill_count: 0
    .wavefront_size: 64
  - .agpr_count:     0
    .args:
      - .offset:         0
        .size:           48
        .value_kind:     by_value
      - .offset:         48
        .size:           48
        .value_kind:     by_value
      - .offset:         96
        .size:           48
        .value_kind:     by_value
      - .offset:         144
        .size:           4
        .value_kind:     by_value
      - .offset:         148
        .size:           4
        .value_kind:     by_value
      - .offset:         152
        .size:           4
        .value_kind:     by_value
      - .offset:         156
        .size:           4
        .value_kind:     by_value
      - .offset:         160
        .size:           4
        .value_kind:     by_value
      - .offset:         164
        .size:           4
        .value_kind:     by_value
      - .offset:         168
        .size:           4
        .value_kind:     by_value
      - .offset:         172
        .size:           4
        .value_kind:     by_value
      - .offset:         176
        .size:           4
        .value_kind:     by_value
      - .offset:         184
        .size:           4
        .value_kind:     hidden_block_count_x
      - .offset:         188
        .size:           4
        .value_kind:     hidden_block_count_y
      - .offset:         192
        .size:           4
        .value_kind:     hidden_block_count_z
      - .offset:         196
        .size:           2
        .value_kind:     hidden_group_size_x
      - .offset:         198
        .size:           2
        .value_kind:     hidden_group_size_y
      - .offset:         200
        .size:           2
        .value_kind:     hidden_group_size_z
      - .offset:         202
        .size:           2
        .value_kind:     hidden_remainder_x
      - .offset:         204
        .size:           2
        .value_kind:     hidden_remainder_y
      - .offset:         206
        .size:           2
        .value_kind:     hidden_remainder_z
      - .offset:         224
        .size:           8
        .value_kind:     hidden_global_offset_x
      - .offset:         232
        .size:           8
        .value_kind:     hidden_global_offset_y
      - .offset:         240
        .size:           8
        .value_kind:     hidden_global_offset_z
      - .offset:         248
        .size:           2
        .value_kind:     hidden_grid_dims
      - .offset:         304
        .size:           4
        .value_kind:     hidden_dynamic_lds_size
    .group_segment_fixed_size: 0
    .kernarg_segment_align: 8
    .kernarg_segment_size: 440
    .language:       OpenCL C
    .language_version:
      - 2
      - 0
    .max_flat_workgroup_size: 1024
    .name:           _ZN2at6native12_GLOBAL__N_144conv_depthwise3d_cuda_backward_weight_kernelIN3c108BFloat16EfLi2ELi2EEEvN5torch10headeronly6detail27GenericPackedTensorAccessorINS7_14TensorAccessorINS3_8ArrayRefIlEEKT_Lm4ENS6_16DefaultPtrTraitsEiEENS_6detail16IndexBoundsCheckILm5EiEESD_Lm5ESE_iEESJ_NS8_INS9_ISB_SC_Lm4ESE_iEESI_SC_Lm5ESE_iEEiiiiiiiii
    .private_segment_fixed_size: 0
    .sgpr_count:     59
    .sgpr_spill_count: 0
    .symbol:         _ZN2at6native12_GLOBAL__N_144conv_depthwise3d_cuda_backward_weight_kernelIN3c108BFloat16EfLi2ELi2EEEvN5torch10headeronly6detail27GenericPackedTensorAccessorINS7_14TensorAccessorINS3_8ArrayRefIlEEKT_Lm4ENS6_16DefaultPtrTraitsEiEENS_6detail16IndexBoundsCheckILm5EiEESD_Lm5ESE_iEESJ_NS8_INS9_ISB_SC_Lm4ESE_iEESI_SC_Lm5ESE_iEEiiiiiiiii.kd
    .uniform_work_group_size: 1
    .uses_dynamic_stack: false
    .vgpr_count:     20
    .vgpr_spill_count: 0
    .wavefront_size: 64
  - .agpr_count:     0
    .args:
      - .offset:         0
        .size:           48
        .value_kind:     by_value
      - .offset:         48
        .size:           48
        .value_kind:     by_value
      - .offset:         96
        .size:           48
        .value_kind:     by_value
      - .offset:         144
        .size:           4
        .value_kind:     by_value
      - .offset:         148
        .size:           4
        .value_kind:     by_value
      - .offset:         152
        .size:           4
        .value_kind:     by_value
      - .offset:         156
        .size:           4
        .value_kind:     by_value
      - .offset:         160
        .size:           4
        .value_kind:     by_value
      - .offset:         164
        .size:           4
        .value_kind:     by_value
      - .offset:         168
        .size:           4
        .value_kind:     by_value
      - .offset:         172
        .size:           4
        .value_kind:     by_value
      - .offset:         176
        .size:           4
        .value_kind:     by_value
      - .offset:         184
        .size:           4
        .value_kind:     hidden_block_count_x
      - .offset:         188
        .size:           4
        .value_kind:     hidden_block_count_y
      - .offset:         192
        .size:           4
        .value_kind:     hidden_block_count_z
      - .offset:         196
        .size:           2
        .value_kind:     hidden_group_size_x
      - .offset:         198
        .size:           2
        .value_kind:     hidden_group_size_y
      - .offset:         200
        .size:           2
        .value_kind:     hidden_group_size_z
      - .offset:         202
        .size:           2
        .value_kind:     hidden_remainder_x
      - .offset:         204
        .size:           2
        .value_kind:     hidden_remainder_y
      - .offset:         206
        .size:           2
        .value_kind:     hidden_remainder_z
      - .offset:         224
        .size:           8
        .value_kind:     hidden_global_offset_x
      - .offset:         232
        .size:           8
        .value_kind:     hidden_global_offset_y
      - .offset:         240
        .size:           8
        .value_kind:     hidden_global_offset_z
      - .offset:         248
        .size:           2
        .value_kind:     hidden_grid_dims
      - .offset:         304
        .size:           4
        .value_kind:     hidden_dynamic_lds_size
    .group_segment_fixed_size: 0
    .kernarg_segment_align: 8
    .kernarg_segment_size: 440
    .language:       OpenCL C
    .language_version:
      - 2
      - 0
    .max_flat_workgroup_size: 1024
    .name:           _ZN2at6native12_GLOBAL__N_144conv_depthwise3d_cuda_backward_weight_kernelIN3c108BFloat16EfLin1ELin1EEEvN5torch10headeronly6detail27GenericPackedTensorAccessorINS7_14TensorAccessorINS3_8ArrayRefIlEEKT_Lm4ENS6_16DefaultPtrTraitsEiEENS_6detail16IndexBoundsCheckILm5EiEESD_Lm5ESE_iEESJ_NS8_INS9_ISB_SC_Lm4ESE_iEESI_SC_Lm5ESE_iEEiiiiiiiii
    .private_segment_fixed_size: 0
    .sgpr_count:     61
    .sgpr_spill_count: 0
    .symbol:         _ZN2at6native12_GLOBAL__N_144conv_depthwise3d_cuda_backward_weight_kernelIN3c108BFloat16EfLin1ELin1EEEvN5torch10headeronly6detail27GenericPackedTensorAccessorINS7_14TensorAccessorINS3_8ArrayRefIlEEKT_Lm4ENS6_16DefaultPtrTraitsEiEENS_6detail16IndexBoundsCheckILm5EiEESD_Lm5ESE_iEESJ_NS8_INS9_ISB_SC_Lm4ESE_iEESI_SC_Lm5ESE_iEEiiiiiiiii.kd
    .uniform_work_group_size: 1
    .uses_dynamic_stack: false
    .vgpr_count:     20
    .vgpr_spill_count: 0
    .wavefront_size: 64
amdhsa.target:   amdgcn-amd-amdhsa--gfx950
amdhsa.version:
  - 1
  - 2
...

	.end_amdgpu_metadata
